;; amdgpu-corpus repo=ROCm/aiter kind=harvested arch=n/a opt=n/a

/root/src/amdgpu-assembly/repos/ROCm__aiter/hsa/gfx950/fp8gemm_blockscale/fp8gemm_bf16_blockscale_BpreShuffle_128x128.co:	file format elf64-amdgpu

Disassembly of section .text:

0000000000002300 <_ZN5aiter43fp8gemm_bf16_blockscale_BpreShuffle_128x128E>:
	s_and_b32 s1, s1, 0xffff                                   // 000000002300: 8601FF01 0000FFFF
	s_load_dwordx2 s[16:17], s[0:1], 0x0                       // 000000002308: C0060400 00000000
	s_load_dwordx2 s[4:5], s[0:1], 0x10                        // 000000002310: C0060100 00000010
	s_load_dwordx2 s[8:9], s[0:1], 0x20                        // 000000002318: C0060200 00000020
	s_load_dwordx2 s[20:21], s[0:1], 0x30                      // 000000002320: C0060500 00000030
	s_load_dwordx2 s[24:25], s[0:1], 0x40                      // 000000002328: C0060600 00000040
	s_load_dwordx2 s[28:29], s[0:1], 0x50                      // 000000002330: C0060700 00000050
	s_load_dword s32, s[0:1], 0x60                             // 000000002338: C0020800 00000060
	s_load_dword s33, s[0:1], 0x70                             // 000000002340: C0020840 00000070
	s_load_dword s34, s[0:1], 0x80                             // 000000002348: C0020880 00000080
	s_load_dword s35, s[0:1], 0x90                             // 000000002350: C00208C0 00000090
	s_load_dword s36, s[0:1], 0xa0                             // 000000002358: C0020900 000000A0
	s_load_dword s37, s[0:1], 0xb0                             // 000000002360: C0020940 000000B0
	s_load_dword s38, s[0:1], 0xc0                             // 000000002368: C0020980 000000C0
	s_load_dword s39, s[0:1], 0xd0                             // 000000002370: C00209C0 000000D0
	s_load_dword s40, s[0:1], 0xe0                             // 000000002378: C0020A00 000000E0
	s_load_dword s41, s[0:1], 0xf0                             // 000000002380: C0020A40 000000F0
	v_lshrrev_b32_e32 v1, 10, v0                               // 000000002388: 2002008A
	v_lshrrev_b32_e32 v2, 10, v1                               // 00000000238C: 2004028A
	v_and_b32_e32 v2, 0x3ff, v2                                // 000000002390: 260404FF 000003FF
	v_and_b32_e32 v1, 0x3ff, v1                                // 000000002398: 260202FF 000003FF
	v_and_b32_e32 v0, 0x3ff, v0                                // 0000000023A0: 260000FF 000003FF
	v_lshrrev_b32_e32 v3, 6, v0                                // 0000000023A8: 20060086
	v_and_b32_e32 v0, 63, v0                                   // 0000000023AC: 260000BF
	s_mov_b32 s44, s2                                          // 0000000023B0: BEAC0002
	s_mov_b32 s45, s3                                          // 0000000023B4: BEAD0003
	s_waitcnt lgkmcnt(0)                                       // 0000000023B8: BF8CC07F
	v_readfirstlane_b32 s47, v3                                // 0000000023BC: 7E5E0503
	s_mov_b32 s6, 0x80000000                                   // 0000000023C0: BE8600FF 80000000
	s_mov_b32 s10, 0x80000000                                  // 0000000023C8: BE8A00FF 80000000
	s_mov_b32 s22, 0x80000000                                  // 0000000023D0: BE9600FF 80000000
	s_mov_b32 s26, 0x80000000                                  // 0000000023D8: BE9A00FF 80000000
	s_mov_b32 s30, 0x80000000                                  // 0000000023E0: BE9E00FF 80000000
	s_mov_b32 s7, 0x20000                                      // 0000000023E8: BE8700FF 00020000
	s_mov_b32 s11, 0x20000                                     // 0000000023F0: BE8B00FF 00020000
	s_mov_b32 s23, 0x20000                                     // 0000000023F8: BE9700FF 00020000
	s_mov_b32 s27, 0x20000                                     // 000000002400: BE9B00FF 00020000
	s_mov_b32 s31, 0x20000                                     // 000000002408: BE9F00FF 00020000
	s_and_b32 s5, s5, 0xffff                                   // 000000002410: 8605FF05 0000FFFF
	s_and_b32 s9, s9, 0xffff                                   // 000000002418: 8609FF09 0000FFFF
	s_and_b32 s21, s21, 0xffff                                 // 000000002420: 8615FF15 0000FFFF
	s_and_b32 s25, s25, 0xffff                                 // 000000002428: 8619FF19 0000FFFF
	s_and_b32 s29, s29, 0xffff                                 // 000000002430: 861DFF1D 0000FFFF
	s_or_b32 s5, s5, 0x40000                                   // 000000002438: 8705FF05 00040000
	s_or_b32 s9, s9, 0x40000                                   // 000000002440: 8709FF09 00040000
	s_or_b32 s21, s21, 0x40000                                 // 000000002448: 8715FF15 00040000
	s_or_b32 s25, s25, 0x40000                                 // 000000002450: 8719FF19 00040000
	s_or_b32 s29, s29, 0x40000                                 // 000000002458: 871DFF1D 00040000
	s_mov_b32 s61, s44                                         // 000000002460: BEBD002C
	s_mov_b32 s62, s38                                         // 000000002464: BEBE0026
	v_cvt_f32_u32_e32 v4, s62                                  // 000000002468: 7E080C3E
	s_sub_i32 s50, 0, s62                                      // 00000000246C: 81B23E80
	v_rcp_iflag_f32_e32 v4, v4                                 // 000000002470: 7E084704
	s_nop 0                                                    // 000000002474: BF800000
	v_mul_f32_e32 v4, 0x4f7ffffe, v4                           // 000000002478: 0A0808FF 4F7FFFFE
	v_cvt_u32_f32_e32 v4, v4                                   // 000000002480: 7E080F04
	v_mul_lo_u32 v5, s50, v4                                   // 000000002484: D2850005 00020832
	v_mul_hi_u32 v5, v4, v5                                    // 00000000248C: D2860005 00020B04
	v_add_u32_e32 v4, v4, v5                                   // 000000002494: 68080B04
	v_mul_hi_u32 v4, s61, v4                                   // 000000002498: D2860004 0002083D
	v_mul_lo_u32 v5, v4, s62                                   // 0000000024A0: D2850005 00007D04
	v_sub_u32_e32 v7, s61, v5                                  // 0000000024A8: 6A0E0A3D
	v_add_u32_e32 v6, 1, v4                                    // 0000000024AC: 680C0881
	v_cmp_le_u32_e32 vcc, s62, v7                              // 0000000024B0: 7D960E3E
	v_subrev_u32_e32 v5, s62, v7                               // 0000000024B4: 6C0A0E3E
	s_nop 0                                                    // 0000000024B8: BF800000
	v_cndmask_b32_e32 v4, v4, v6, vcc                          // 0000000024BC: 00080D04
	v_cndmask_b32_e32 v7, v7, v5, vcc                          // 0000000024C0: 000E0B07
	v_add_u32_e32 v5, 1, v4                                    // 0000000024C4: 680A0881
	v_cmp_le_u32_e32 vcc, s62, v7                              // 0000000024C8: 7D960E3E
	s_nop 1                                                    // 0000000024CC: BF800001
	v_cndmask_b32_e32 v7, v4, v5, vcc                          // 0000000024D0: 000E0B04
	s_nop 3                                                    // 0000000024D4: BF800003
	v_readfirstlane_b32 s63, v7                                // 0000000024D8: 7E7E0507
	s_nop 3                                                    // 0000000024DC: BF800003
	s_mov_b32 s44, s63                                         // 0000000024E0: BEAC003F
	s_mul_i32 s50, s44, s38                                    // 0000000024E4: 9232262C
	s_sub_u32 s75, s61, s50                                    // 0000000024E8: 80CB323D
	s_mov_b32 s61, s34                                         // 0000000024EC: BEBD0022
	s_mov_b32 s62, s38                                         // 0000000024F0: BEBE0026
	v_cvt_f32_u32_e32 v4, s62                                  // 0000000024F4: 7E080C3E
	s_sub_i32 s50, 0, s62                                      // 0000000024F8: 81B23E80
	v_rcp_iflag_f32_e32 v4, v4                                 // 0000000024FC: 7E084704
	s_nop 0                                                    // 000000002500: BF800000
	v_mul_f32_e32 v4, 0x4f7ffffe, v4                           // 000000002504: 0A0808FF 4F7FFFFE
	v_cvt_u32_f32_e32 v4, v4                                   // 00000000250C: 7E080F04
	v_mul_lo_u32 v5, s50, v4                                   // 000000002510: D2850005 00020832
	v_mul_hi_u32 v5, v4, v5                                    // 000000002518: D2860005 00020B04
	v_add_u32_e32 v4, v4, v5                                   // 000000002520: 68080B04
	v_mul_hi_u32 v4, s61, v4                                   // 000000002524: D2860004 0002083D
	v_mul_lo_u32 v5, v4, s62                                   // 00000000252C: D2850005 00007D04
	v_sub_u32_e32 v7, s61, v5                                  // 000000002534: 6A0E0A3D
	v_add_u32_e32 v6, 1, v4                                    // 000000002538: 680C0881
	v_cmp_le_u32_e32 vcc, s62, v7                              // 00000000253C: 7D960E3E
	v_subrev_u32_e32 v5, s62, v7                               // 000000002540: 6C0A0E3E
	s_nop 0                                                    // 000000002544: BF800000
	v_cndmask_b32_e32 v4, v4, v6, vcc                          // 000000002548: 00080D04
	v_cndmask_b32_e32 v7, v7, v5, vcc                          // 00000000254C: 000E0B07
	v_add_u32_e32 v5, 1, v4                                    // 000000002550: 680A0881
	v_cmp_le_u32_e32 vcc, s62, v7                              // 000000002554: 7D960E3E
	s_nop 1                                                    // 000000002558: BF800001
	v_cndmask_b32_e32 v7, v4, v5, vcc                          // 00000000255C: 000E0B04
	s_nop 3                                                    // 000000002560: BF800003
	v_readfirstlane_b32 s63, v7                                // 000000002564: 7E7E0507
	s_nop 3                                                    // 000000002568: BF800003
	s_add_u32 s63, 0x7f, s63                                   // 00000000256C: 803F3FFF 0000007F
	s_lshr_b32 s63, s63, 7                                     // 000000002574: 8F3F873F
	s_lshl_b32 s76, s63, 7                                     // 000000002578: 8E4C873F
	s_mul_i32 s51, s76, s75                                    // 00000000257C: 92334B4C
	s_sub_i32 s50, s34, s51                                    // 000000002580: 81B23322
	s_cmp_lt_i32 s50, s76                                      // 000000002584: BF044C32
	s_cselect_b32 s34, s50, s76                                // 000000002588: 85224C32
	s_mul_i32 s50, s45, 0x80                                   // 00000000258C: 9232FF2D 00000080
	s_mul_i32 s51, s50, s37                                    // 000000002594: 92332532
	s_mul_hi_u32 s52, s50, s37                                 // 000000002598: 96342532
	s_add_u32 s16, s16, s51                                    // 00000000259C: 80103310
	s_addc_u32 s17, s17, s52                                   // 0000000025A0: 82113411
	s_mul_i32 s50, s44, 0x80                                   // 0000000025A4: 9232FF2C 00000080
	s_mul_i32 s51, s50, 2                                      // 0000000025AC: 92338232
	s_mul_hi_u32 s52, s50, 2                                   // 0000000025B0: 96348232
	s_add_u32 s16, s16, s51                                    // 0000000025B4: 80103310
	s_addc_u32 s17, s17, s52                                   // 0000000025B8: 82113411
	s_mov_b32 s80, s16                                         // 0000000025BC: BED00010
	s_mov_b32 s81, s17                                         // 0000000025C0: BED10011
	s_mul_i32 s50, s45, 0x80                                   // 0000000025C4: 9232FF2D 00000080
	s_sub_i32 s51, s32, s50                                    // 0000000025CC: 81B33220
	s_cmp_lt_u32 s51, 0x80                                     // 0000000025D0: BF0AFF33 00000080
	s_cselect_b32 s50, s51, 0x80                               // 0000000025D8: 8532FF33 00000080
	s_mul_i32 s51, s50, s37                                    // 0000000025E0: 92332532
	s_mov_b32 s18, s51                                         // 0000000025E4: BE920033
	s_mov_b32 s82, 0x80000000                                  // 0000000025E8: BED200FF 80000000
	s_mov_b32 s19, 0x20000                                     // 0000000025F0: BE9300FF 00020000
	s_and_b32 s17, s17, 0xffff                                 // 0000000025F8: 8611FF11 0000FFFF
	s_and_b32 s81, s81, 0xffff                                 // 000000002600: 8651FF51 0000FFFF
	s_or_b32 s17, s17, 0x40000                                 // 000000002608: 8711FF11 00040000
	s_mov_b32 s48, 0x7060302                                   // 000000002610: BEB000FF 07060302
	v_mov_b32_e32 v9, 0xffff0000                               // 000000002618: 7E1202FF FFFF0000
	v_mov_b32_e32 v10, 0x7fff0000                              // 000000002620: 7E1402FF 7FFF0000
	v_mov_b32_e32 v11, 0x7fff                                  // 000000002628: 7E1602FF 00007FFF
	s_mul_i32 s50, 0x80, s44                                   // 000000002630: 92322CFF 00000080
	s_mul_hi_u32 s51, 4, s50                                   // 000000002638: 96333284
	s_add_u32 s29, s29, s51                                    // 00000000263C: 801D331D
	s_mul_i32 s51, 4, s50                                      // 000000002640: 92333284
	s_add_u32 s28, s28, s51                                    // 000000002644: 801C331C
	s_addc_u32 s29, s29, 0                                     // 000000002648: 821D801D
	s_sub_i32 s51, s33, s50                                    // 00000000264C: 81B33221
	s_cmp_lt_u32 s51, 0x80                                     // 000000002650: BF0AFF33 00000080
	s_cselect_b32 s50, s51, 0x80                               // 000000002658: 8532FF33 00000080
	s_mul_i32 s51, 4, s50                                      // 000000002660: 92333284
	s_mov_b32 s30, s51                                         // 000000002664: BE9E0033
	s_mov_b32 s31, 0x20000                                     // 000000002668: BE9F00FF 00020000
	v_lshrrev_b32_e32 v4, 4, v0                                // 000000002670: 20080084
	v_lshlrev_b32_e32 v4, 4, v4                                // 000000002674: 24080884
	s_mul_i32 s52, s47, 0x80                                   // 000000002678: 9234FF2F 00000080
	v_add_u32_e64 v4, v4, s52                                  // 000000002680: D1340004 00006904
	v_add_u32_e64 v5, v4, 64                                   // 000000002688: D1340005 00018104
	buffer_load_dwordx4 v[12:15], v4, s[28:31], 0 offen        // 000000002690: E05C1000 80070C04
	buffer_load_dwordx4 v[16:19], v5, s[28:31], 0 offen        // 000000002698: E05C1000 80071005
	s_mul_i32 s50, 0x80, s45                                   // 0000000026A0: 92322DFF 00000080
	s_mul_hi_u32 s52, 4, s50                                   // 0000000026A8: 96343284
	s_mul_i32 s51, 4, s50                                      // 0000000026AC: 92333284
	s_add_u32 s20, s20, s51                                    // 0000000026B0: 80143314
	s_addc_u32 s21, s21, s52                                   // 0000000026B4: 82153415
	s_sub_i32 s51, s32, s50                                    // 0000000026B8: 81B33220
	s_cmp_lt_u32 s51, 0x80                                     // 0000000026BC: BF0AFF33 00000080
	s_cselect_b32 s50, s51, 0x80                               // 0000000026C4: 8532FF33 00000080
	s_lshl_b32 s51, s50, 2                                     // 0000000026CC: 8E338232
	s_mov_b32 s22, s51                                         // 0000000026D0: BE960033
	s_mov_b32 s23, 0x20000                                     // 0000000026D4: BE9700FF 00020000
	s_lshr_b32 s50, s76, 7                                     // 0000000026DC: 8F32874C
	s_mul_i32 s50, s50, s75                                    // 0000000026E0: 92324B32
	s_mul_i32 s51, s50, s32                                    // 0000000026E4: 92332032
	s_mul_hi_u32 s52, s50, s32                                 // 0000000026E8: 96342032
	s_lshr_b32 s50, s51, 30                                    // 0000000026EC: 8F329E33
	s_lshl_b32 s51, s51, 2                                     // 0000000026F0: 8E338233
	s_lshl_b32 s52, s52, 2                                     // 0000000026F4: 8E348234
	s_add_u32 s52, s52, s50                                    // 0000000026F8: 80343234
	s_add_u32 s20, s20, s51                                    // 0000000026FC: 80143314
	s_addc_u32 s21, s21, s52                                   // 000000002700: 82153415
	v_and_b32_e64 v239, v0, 15                                 // 000000002704: D11300EF 00011F00
	v_lshlrev_b32_e32 v239, 2, v239                            // 00000000270C: 25DFDE82
	s_mov_b32 s50, 64                                          // 000000002710: BEB200C0
	v_add_u32_e64 v240, v239, s50                              // 000000002714: D13400F0 000065EF
	s_mov_b32 s50, 0x80                                        // 00000000271C: BEB200FF 00000080
	v_add_u32_e64 v241, v239, s50                              // 000000002724: D13400F1 000065EF
	s_mov_b32 s50, 0xc0                                        // 00000000272C: BEB200FF 000000C0
	v_add_u32_e64 v242, v239, s50                              // 000000002734: D13400F2 000065EF
	s_mov_b32 s50, 0x100                                       // 00000000273C: BEB200FF 00000100
	v_add_u32_e64 v243, v239, s50                              // 000000002744: D13400F3 000065EF
	s_mov_b32 s50, 0x140                                       // 00000000274C: BEB200FF 00000140
	v_add_u32_e64 v244, v239, s50                              // 000000002754: D13400F4 000065EF
	s_mov_b32 s50, 0x180                                       // 00000000275C: BEB200FF 00000180
	v_add_u32_e64 v245, v239, s50                              // 000000002764: D13400F5 000065EF
	s_mov_b32 s50, 0x1c0                                       // 00000000276C: BEB200FF 000001C0
	v_add_u32_e64 v246, v239, s50                              // 000000002774: D13400F6 000065EF
	s_mul_i32 s51, s41, s44                                    // 00000000277C: 92332C29
	s_mul_hi_u32 s52, 4, s51                                   // 000000002780: 96343384
	s_add_u32 s25, s25, s52                                    // 000000002784: 80193419
	s_mul_i32 s52, 4, s51                                      // 000000002788: 92343384
	s_add_u32 s24, s24, s52                                    // 00000000278C: 80183418
	s_addc_u32 s25, s25, 0                                     // 000000002790: 82198019
	s_lshr_b32 s50, s76, 7                                     // 000000002794: 8F32874C
	s_mul_i32 s50, s50, s75                                    // 000000002798: 92324B32
	s_lshl_b32 s50, s50, 2                                     // 00000000279C: 8E328232
	s_add_u32 s24, s24, s50                                    // 0000000027A0: 80183218
	s_addc_u32 s25, s25, 0                                     // 0000000027A4: 82198019
	s_sub_u32 s26, s26, s50                                    // 0000000027A8: 809A321A
	v_mov_b32_e32 v255, 0                                      // 0000000027AC: 7FFE0280
	v_lshrrev_b32_e32 v4, 5, v0                                // 0000000027B0: 20080085
	v_lshlrev_b32_e32 v4, 2, v4                                // 0000000027B4: 24080882
	v_mul_i32_i24_e32 v4, s35, v4                              // 0000000027B8: 0C080823
	v_and_b32_e32 v42, 31, v0                                  // 0000000027BC: 2654009F
	v_lshlrev_b32_e32 v42, 2, v42                              // 0000000027C0: 24545482
	s_mul_i32 s50, 0x80, s45                                   // 0000000027C4: 92322DFF 00000080
	s_sub_i32 s51, s32, s50                                    // 0000000027CC: 81B33220
	s_cmp_lt_u32 s51, 0x80                                     // 0000000027D0: BF0AFF33 00000080
	s_cselect_b32 s51, s51, 0x80                               // 0000000027D8: 8533FF33 00000080
	s_mul_i32 s52, s35, s50                                    // 0000000027E0: 92343223
	s_mul_hi_u32 s50, s35, s50                                 // 0000000027E4: 96323223
	s_add_u32 s4, s4, s52                                      // 0000000027E8: 80043404
	s_addc_u32 s5, s5, s50                                     // 0000000027EC: 82053205
	s_mul_i32 s50, s35, s51                                    // 0000000027F0: 92323323
	s_mov_b32 s6, s50                                          // 0000000027F4: BE860032
	s_mov_b32 s7, 0x20000                                      // 0000000027F8: BE8700FF 00020000
	s_mul_i32 s51, s76, s75                                    // 000000002800: 92334B4C
	s_add_u32 s4, s51, s4                                      // 000000002804: 80040433
	s_addc_u32 s5, 0, s5                                       // 000000002808: 82050580
	s_sub_u32 s6, s6, s51                                      // 00000000280C: 80863306
	s_mul_i32 s50, s35, s47                                    // 000000002810: 92322F23
	v_add3_u32 v42, v4, v42, s50                               // 000000002814: D1FF002A 00CA5504
	s_lshl_b32 s50, s35, 3                                     // 00000000281C: 8E328323
	v_add_u32_e32 v43, s50, v42                                // 000000002820: 68565432
	v_add_u32_e32 v44, s50, v43                                // 000000002824: 68585632
	v_add_u32_e32 v45, s50, v44                                // 000000002828: 685A5832
	v_add_u32_e32 v46, s50, v45                                // 00000000282C: 685C5A32
	v_add_u32_e32 v47, s50, v46                                // 000000002830: 685E5C32
	v_add_u32_e32 v48, s50, v47                                // 000000002834: 68605E32
	v_add_u32_e32 v49, s50, v48                                // 000000002838: 68626032
	v_add_u32_e32 v50, s50, v49                                // 00000000283C: 68646232
	v_add_u32_e32 v51, s50, v50                                // 000000002840: 68666432
	v_add_u32_e32 v52, s50, v51                                // 000000002844: 68686632
	v_add_u32_e32 v53, s50, v52                                // 000000002848: 686A6832
	v_add_u32_e32 v54, s50, v53                                // 00000000284C: 686C6A32
	v_add_u32_e32 v55, s50, v54                                // 000000002850: 686E6C32
	v_add_u32_e32 v56, s50, v55                                // 000000002854: 68706E32
	v_add_u32_e32 v57, s50, v56                                // 000000002858: 68727032
	s_mov_b32 s54, 0x80                                        // 00000000285C: BEB600FF 00000080
	s_mul_i32 s56, s32, 4                                      // 000000002864: 92388420
	s_mov_b32 s57, 4                                           // 000000002868: BEB90084
	s_mov_b32 s50, 0x80                                        // 00000000286C: BEB200FF 00000080
	s_lshr_b32 s50, s50, 2                                     // 000000002874: 8F328232
	s_mul_i32 s50, s50, 32                                     // 000000002878: 9232A032
	s_mov_b32 s51, 8                                           // 00000000287C: BEB30088
	s_add_u32 s50, s50, s51                                    // 000000002880: 80323332
	v_lshrrev_b32_e32 v4, 4, v0                                // 000000002884: 20080084
	v_and_b32_e32 v5, 15, v0                                   // 000000002888: 260A008F
	v_and_b32_e32 v6, 3, v5                                    // 00000000288C: 260C0A83
	v_lshrrev_b32_e32 v7, 2, v5                                // 000000002890: 200E0A82
	v_lshlrev_b32_e32 v4, 2, v4                                // 000000002894: 24080882
	v_mul_lo_u32 v6, v6, s50                                   // 000000002898: D2850006 00006506
	v_lshlrev_b32_e32 v7, 5, v7                                // 0000000028A0: 240E0E85
	v_add_u32_e32 v4, v4, v6                                   // 0000000028A4: 68080D04
	v_add_u32_e32 v4, v4, v7                                   // 0000000028A8: 68080F04
	v_lshlrev_b32_e32 v58, 2, v4                               // 0000000028AC: 24740882
	s_mul_i32 s50, 0x1020, s47                                 // 0000000028B0: 92322FFF 00001020
	s_add_u32 s58, 0, s50                                      // 0000000028B8: 803A3280
	s_add_u32 s59, 0x4080, s58                                 // 0000000028BC: 803B3AFF 00004080
	s_add_u32 s60, 0x4080, s59                                 // 0000000028C4: 803C3BFF 00004080
	s_mov_b32 s55, 0x800                                       // 0000000028CC: BEB700FF 00000800
	s_mul_i32 s49, 0x80, s44                                   // 0000000028D4: 92312CFF 00000080
	s_sub_i32 s51, s33, s49                                    // 0000000028DC: 81B33121
	s_cmp_lt_u32 s51, 0x80                                     // 0000000028E0: BF0AFF33 00000080
	s_cselect_b32 s50, s51, 0x80                               // 0000000028E8: 8532FF33 00000080
	s_mul_i32 s51, s36, s49                                    // 0000000028F0: 92333124
	s_mul_hi_u32 s52, s36, s49                                 // 0000000028F4: 96343124
	s_add_u32 s8, s8, s51                                      // 0000000028F8: 80083308
	s_addc_u32 s9, s9, s52                                     // 0000000028FC: 82093409
	s_mul_i32 s51, s36, s50                                    // 000000002900: 92333224
	s_mov_b32 s10, s51                                         // 000000002904: BE8A0033
	s_mov_b32 s11, 0x20000                                     // 000000002908: BE8B00FF 00020000
	s_lshr_b32 s51, s76, 7                                     // 000000002910: 8F33874C
	s_mul_i32 s50, s55, s75                                    // 000000002914: 92324B37
	s_mul_i32 s50, s51, s50                                    // 000000002918: 92323233
	s_add_u32 s8, s50, s8                                      // 00000000291C: 80080832
	s_addc_u32 s9, 0, s9                                       // 000000002920: 82090980
	s_sub_u32 s10, s10, s50                                    // 000000002924: 808A320A
	s_lshl_b32 s50, s47, 5                                     // 000000002928: 8E32852F
	s_mul_i32 s50, s36, s50                                    // 00000000292C: 92323224
	v_lshlrev_b32_e32 v38, 4, v0                               // 000000002930: 244C0084
	v_add_u32_e32 v38, s50, v38                                // 000000002934: 684C4C32
	s_mov_b32 s50, 0x400                                       // 000000002938: BEB200FF 00000400
	v_add_u32_e64 v39, v38, s50                                // 000000002940: D1340027 00006526
	s_mul_i32 s50, s36, 16                                     // 000000002948: 92329024
	v_add_u32_e64 v40, v38, s50                                // 00000000294C: D1340028 00006526
	v_add_u32_e64 v41, v39, s50                                // 000000002954: D1340029 00006527
	s_add_u32 m0, 0, s58                                       // 00000000295C: 807C3A80
	buffer_load_dword v42, s[4:7], 0 offen lds                 // 000000002960: E0511000 8001002A
	s_add_u32 m0, 0x100, s58                                   // 000000002968: 807C3AFF 00000100
	buffer_load_dword v43, s[4:7], 0 offen lds                 // 000000002970: E0511000 8001002B
	s_add_u32 m0, 0x200, s58                                   // 000000002978: 807C3AFF 00000200
	buffer_load_dword v44, s[4:7], 0 offen lds                 // 000000002980: E0511000 8001002C
	s_add_u32 m0, 0x300, s58                                   // 000000002988: 807C3AFF 00000300
	buffer_load_dword v45, s[4:7], 0 offen lds                 // 000000002990: E0511000 8001002D
	s_add_u32 m0, 0x400, s58                                   // 000000002998: 807C3AFF 00000400
	buffer_load_dword v46, s[4:7], 0 offen lds                 // 0000000029A0: E0511000 8001002E
	s_add_u32 m0, 0x500, s58                                   // 0000000029A8: 807C3AFF 00000500
	buffer_load_dword v47, s[4:7], 0 offen lds                 // 0000000029B0: E0511000 8001002F
	s_add_u32 m0, 0x600, s58                                   // 0000000029B8: 807C3AFF 00000600
	buffer_load_dword v48, s[4:7], 0 offen lds                 // 0000000029C0: E0511000 80010030
	s_add_u32 m0, 0x700, s58                                   // 0000000029C8: 807C3AFF 00000700
	buffer_load_dword v49, s[4:7], 0 offen lds                 // 0000000029D0: E0511000 80010031
	s_add_u32 m0, 0x800, s58                                   // 0000000029D8: 807C3AFF 00000800
	buffer_load_dword v50, s[4:7], 0 offen lds                 // 0000000029E0: E0511000 80010032
	s_add_u32 m0, 0x900, s58                                   // 0000000029E8: 807C3AFF 00000900
	buffer_load_dword v51, s[4:7], 0 offen lds                 // 0000000029F0: E0511000 80010033
	s_add_u32 m0, 0xa00, s58                                   // 0000000029F8: 807C3AFF 00000A00
	buffer_load_dword v52, s[4:7], 0 offen lds                 // 000000002A00: E0511000 80010034
	s_add_u32 m0, 0xb00, s58                                   // 000000002A08: 807C3AFF 00000B00
	buffer_load_dword v53, s[4:7], 0 offen lds                 // 000000002A10: E0511000 80010035
	s_add_u32 m0, 0xc00, s58                                   // 000000002A18: 807C3AFF 00000C00
	buffer_load_dword v54, s[4:7], 0 offen lds                 // 000000002A20: E0511000 80010036
	s_add_u32 m0, 0xd00, s58                                   // 000000002A28: 807C3AFF 00000D00
	buffer_load_dword v55, s[4:7], 0 offen lds                 // 000000002A30: E0511000 80010037
	s_add_u32 m0, 0xe00, s58                                   // 000000002A38: 807C3AFF 00000E00
	buffer_load_dword v56, s[4:7], 0 offen lds                 // 000000002A40: E0511000 80010038
	s_add_u32 m0, 0xf00, s58                                   // 000000002A48: 807C3AFF 00000F00
	buffer_load_dword v57, s[4:7], 0 offen lds                 // 000000002A50: E0511000 80010039
	s_mov_b32 s53, 0                                           // 000000002A58: BEB50080
	s_add_u32 s50, 0x80, s53                                   // 000000002A5C: 803235FF 00000080
	s_cmp_lt_u32 s50, s34                                      // 000000002A64: BF0A2232
	s_cselect_b32 s54, s54, 0                                  // 000000002A68: 85368036
	s_add_u32 s4, s54, s4                                      // 000000002A6C: 80040436
	s_addc_u32 s5, 0, s5                                       // 000000002A70: 82050580
	s_sub_u32 s6, s6, s54                                      // 000000002A74: 80863606
	buffer_load_dword v188, v239, s[20:23], 0 offen            // 000000002A78: E0501000 8005BCEF
	buffer_load_dword v189, v240, s[20:23], 0 offen            // 000000002A80: E0501000 8005BDF0
	buffer_load_dword v190, v241, s[20:23], 0 offen            // 000000002A88: E0501000 8005BEF1
	buffer_load_dword v191, v242, s[20:23], 0 offen            // 000000002A90: E0501000 8005BFF2
	buffer_load_dword v192, v243, s[20:23], 0 offen            // 000000002A98: E0501000 8005C0F3
	buffer_load_dword v193, v244, s[20:23], 0 offen            // 000000002AA0: E0501000 8005C1F4
	buffer_load_dword v194, v245, s[20:23], 0 offen            // 000000002AA8: E0501000 8005C2F5
	buffer_load_dword v195, v246, s[20:23], 0 offen            // 000000002AB0: E0501000 8005C3F6
	s_add_u32 s50, 0x80, s53                                   // 000000002AB8: 803235FF 00000080
	s_cmp_lt_u32 s50, s34                                      // 000000002AC0: BF0A2232
	s_cselect_b32 s56, s56, 0                                  // 000000002AC4: 85388038
	s_add_u32 s20, s56, s20                                    // 000000002AC8: 80141438
	s_addc_u32 s21, 0, s21                                     // 000000002ACC: 82151580
	v_mov_b32_e32 v124, 0                                      // 000000002AD0: 7EF80280
	v_mov_b32_e32 v125, 0                                      // 000000002AD4: 7EFA0280
	v_mov_b32_e32 v126, 0                                      // 000000002AD8: 7EFC0280
	v_mov_b32_e32 v127, 0                                      // 000000002ADC: 7EFE0280
	v_mov_b32_e32 v128, 0                                      // 000000002AE0: 7F000280
	v_mov_b32_e32 v129, 0                                      // 000000002AE4: 7F020280
	v_mov_b32_e32 v130, 0                                      // 000000002AE8: 7F040280
	v_mov_b32_e32 v131, 0                                      // 000000002AEC: 7F060280
	buffer_load_dwordx4 a[0:3], v38, s[8:11], 0 offen          // 000000002AF0: E05C1000 80820026
	buffer_load_dwordx4 a[4:7], v39, s[8:11], 0 offen          // 000000002AF8: E05C1000 80820427
	buffer_load_dwordx4 a[8:11], v40, s[8:11], 0 offen         // 000000002B00: E05C1000 80820828
	buffer_load_dwordx4 a[12:15], v41, s[8:11], 0 offen        // 000000002B08: E05C1000 80820C29
	s_mov_b32 s53, 0                                           // 000000002B10: BEB50080
	s_add_u32 s50, 0x80, s53                                   // 000000002B14: 803235FF 00000080
	s_cmp_lt_u32 s50, s34                                      // 000000002B1C: BF0A2232
	s_cselect_b32 s55, s55, 0                                  // 000000002B20: 85378037
	s_add_u32 s8, s55, s8                                      // 000000002B24: 80080837
	s_addc_u32 s9, 0, s9                                       // 000000002B28: 82090980
	s_sub_u32 s10, s10, s55                                    // 000000002B2C: 808A370A
	buffer_load_dword v236, v255, s[24:27], 0 offen            // 000000002B30: E0501000 8006ECFF
	s_add_u32 s50, 0x80, s53                                   // 000000002B38: 803235FF 00000080
	s_cmp_lt_u32 s50, s34                                      // 000000002B40: BF0A2232
	s_cselect_b32 s57, s57, 0                                  // 000000002B44: 85398039
	s_add_u32 s24, s57, s24                                    // 000000002B48: 80181839
	s_addc_u32 s25, 0, s25                                     // 000000002B4C: 82191980
	s_sub_u32 s26, s26, s57                                    // 000000002B50: 809A391A
	s_add_u32 m0, 0, s59                                       // 000000002B54: 807C3B80
	buffer_load_dword v42, s[4:7], 0 offen lds                 // 000000002B58: E0511000 8001002A
	s_add_u32 m0, 0x100, s59                                   // 000000002B60: 807C3BFF 00000100
	buffer_load_dword v43, s[4:7], 0 offen lds                 // 000000002B68: E0511000 8001002B
	s_add_u32 m0, 0x200, s59                                   // 000000002B70: 807C3BFF 00000200
	buffer_load_dword v44, s[4:7], 0 offen lds                 // 000000002B78: E0511000 8001002C
	s_add_u32 m0, 0x300, s59                                   // 000000002B80: 807C3BFF 00000300
	buffer_load_dword v45, s[4:7], 0 offen lds                 // 000000002B88: E0511000 8001002D
	s_add_u32 m0, 0x400, s59                                   // 000000002B90: 807C3BFF 00000400
	buffer_load_dword v46, s[4:7], 0 offen lds                 // 000000002B98: E0511000 8001002E
	s_add_u32 m0, 0x500, s59                                   // 000000002BA0: 807C3BFF 00000500
	buffer_load_dword v47, s[4:7], 0 offen lds                 // 000000002BA8: E0511000 8001002F
	s_add_u32 m0, 0x600, s59                                   // 000000002BB0: 807C3BFF 00000600
	buffer_load_dword v48, s[4:7], 0 offen lds                 // 000000002BB8: E0511000 80010030
	s_add_u32 m0, 0x700, s59                                   // 000000002BC0: 807C3BFF 00000700
	buffer_load_dword v49, s[4:7], 0 offen lds                 // 000000002BC8: E0511000 80010031
	s_add_u32 m0, 0x800, s59                                   // 000000002BD0: 807C3BFF 00000800
	buffer_load_dword v50, s[4:7], 0 offen lds                 // 000000002BD8: E0511000 80010032
	s_add_u32 m0, 0x900, s59                                   // 000000002BE0: 807C3BFF 00000900
	buffer_load_dword v51, s[4:7], 0 offen lds                 // 000000002BE8: E0511000 80010033
	s_add_u32 m0, 0xa00, s59                                   // 000000002BF0: 807C3BFF 00000A00
	buffer_load_dword v52, s[4:7], 0 offen lds                 // 000000002BF8: E0511000 80010034
	s_add_u32 m0, 0xb00, s59                                   // 000000002C00: 807C3BFF 00000B00
	buffer_load_dword v53, s[4:7], 0 offen lds                 // 000000002C08: E0511000 80010035
	s_add_u32 m0, 0xc00, s59                                   // 000000002C10: 807C3BFF 00000C00
	buffer_load_dword v54, s[4:7], 0 offen lds                 // 000000002C18: E0511000 80010036
	s_add_u32 m0, 0xd00, s59                                   // 000000002C20: 807C3BFF 00000D00
	buffer_load_dword v55, s[4:7], 0 offen lds                 // 000000002C28: E0511000 80010037
	s_add_u32 m0, 0xe00, s59                                   // 000000002C30: 807C3BFF 00000E00
	buffer_load_dword v56, s[4:7], 0 offen lds                 // 000000002C38: E0511000 80010038
	s_add_u32 m0, 0xf00, s59                                   // 000000002C40: 807C3BFF 00000F00
	buffer_load_dword v57, s[4:7], 0 offen lds                 // 000000002C48: E0511000 80010039
	s_mov_b32 s53, 0x80                                        // 000000002C50: BEB500FF 00000080
	s_add_u32 s50, 0x80, s53                                   // 000000002C58: 803235FF 00000080
	s_cmp_lt_u32 s50, s34                                      // 000000002C60: BF0A2232
	s_cselect_b32 s54, s54, 0                                  // 000000002C64: 85368036
	s_add_u32 s4, s54, s4                                      // 000000002C68: 80040436
	s_addc_u32 s5, 0, s5                                       // 000000002C6C: 82050580
	s_sub_u32 s6, s6, s54                                      // 000000002C70: 80863606
	buffer_load_dword v196, v239, s[20:23], 0 offen            // 000000002C74: E0501000 8005C4EF
	buffer_load_dword v197, v240, s[20:23], 0 offen            // 000000002C7C: E0501000 8005C5F0
	buffer_load_dword v198, v241, s[20:23], 0 offen            // 000000002C84: E0501000 8005C6F1
	buffer_load_dword v199, v242, s[20:23], 0 offen            // 000000002C8C: E0501000 8005C7F2
	buffer_load_dword v200, v243, s[20:23], 0 offen            // 000000002C94: E0501000 8005C8F3
	buffer_load_dword v201, v244, s[20:23], 0 offen            // 000000002C9C: E0501000 8005C9F4
	buffer_load_dword v202, v245, s[20:23], 0 offen            // 000000002CA4: E0501000 8005CAF5
	buffer_load_dword v203, v246, s[20:23], 0 offen            // 000000002CAC: E0501000 8005CBF6
	s_add_u32 s50, 0x80, s53                                   // 000000002CB4: 803235FF 00000080
	s_cmp_lt_u32 s50, s34                                      // 000000002CBC: BF0A2232
	s_cselect_b32 s56, s56, 0                                  // 000000002CC0: 85388038
	s_add_u32 s20, s56, s20                                    // 000000002CC4: 80141438
	s_addc_u32 s21, 0, s21                                     // 000000002CC8: 82151580
	v_mov_b32_e32 v132, 0                                      // 000000002CCC: 7F080280
	v_mov_b32_e32 v133, 0                                      // 000000002CD0: 7F0A0280
	v_mov_b32_e32 v134, 0                                      // 000000002CD4: 7F0C0280
	v_mov_b32_e32 v135, 0                                      // 000000002CD8: 7F0E0280
	v_mov_b32_e32 v136, 0                                      // 000000002CDC: 7F100280
	v_mov_b32_e32 v137, 0                                      // 000000002CE0: 7F120280
	v_mov_b32_e32 v138, 0                                      // 000000002CE4: 7F140280
	v_mov_b32_e32 v139, 0                                      // 000000002CE8: 7F160280
	buffer_load_dwordx4 a[16:19], v38, s[8:11], 0 offen        // 000000002CEC: E05C1000 80821026
	buffer_load_dwordx4 a[20:23], v39, s[8:11], 0 offen        // 000000002CF4: E05C1000 80821427
	buffer_load_dwordx4 a[24:27], v40, s[8:11], 0 offen        // 000000002CFC: E05C1000 80821828
	buffer_load_dwordx4 a[28:31], v41, s[8:11], 0 offen        // 000000002D04: E05C1000 80821C29
	s_mov_b32 s53, 0x80                                        // 000000002D0C: BEB500FF 00000080
	s_add_u32 s50, 0x80, s53                                   // 000000002D14: 803235FF 00000080
	s_cmp_lt_u32 s50, s34                                      // 000000002D1C: BF0A2232
	s_cselect_b32 s55, s55, 0                                  // 000000002D20: 85378037
	s_add_u32 s8, s55, s8                                      // 000000002D24: 80080837
	s_addc_u32 s9, 0, s9                                       // 000000002D28: 82090980
	s_sub_u32 s10, s10, s55                                    // 000000002D2C: 808A370A
	buffer_load_dword v237, v255, s[24:27], 0 offen            // 000000002D30: E0501000 8006EDFF
	s_add_u32 s50, 0x80, s53                                   // 000000002D38: 803235FF 00000080
	s_cmp_lt_u32 s50, s34                                      // 000000002D40: BF0A2232
	s_cselect_b32 s57, s57, 0                                  // 000000002D44: 85398039
	s_add_u32 s24, s57, s24                                    // 000000002D48: 80181839
	s_addc_u32 s25, 0, s25                                     // 000000002D4C: 82191980
	s_sub_u32 s26, s26, s57                                    // 000000002D50: 809A391A
	s_add_u32 m0, 0, s60                                       // 000000002D54: 807C3C80
	buffer_load_dword v42, s[4:7], 0 offen lds                 // 000000002D58: E0511000 8001002A
	s_add_u32 m0, 0x100, s60                                   // 000000002D60: 807C3CFF 00000100
	buffer_load_dword v43, s[4:7], 0 offen lds                 // 000000002D68: E0511000 8001002B
	s_add_u32 m0, 0x200, s60                                   // 000000002D70: 807C3CFF 00000200
	buffer_load_dword v44, s[4:7], 0 offen lds                 // 000000002D78: E0511000 8001002C
	s_add_u32 m0, 0x300, s60                                   // 000000002D80: 807C3CFF 00000300
	buffer_load_dword v45, s[4:7], 0 offen lds                 // 000000002D88: E0511000 8001002D
	s_add_u32 m0, 0x400, s60                                   // 000000002D90: 807C3CFF 00000400
	buffer_load_dword v46, s[4:7], 0 offen lds                 // 000000002D98: E0511000 8001002E
	s_add_u32 m0, 0x500, s60                                   // 000000002DA0: 807C3CFF 00000500
	buffer_load_dword v47, s[4:7], 0 offen lds                 // 000000002DA8: E0511000 8001002F
	s_add_u32 m0, 0x600, s60                                   // 000000002DB0: 807C3CFF 00000600
	buffer_load_dword v48, s[4:7], 0 offen lds                 // 000000002DB8: E0511000 80010030
	s_add_u32 m0, 0x700, s60                                   // 000000002DC0: 807C3CFF 00000700
	buffer_load_dword v49, s[4:7], 0 offen lds                 // 000000002DC8: E0511000 80010031
	s_add_u32 m0, 0x800, s60                                   // 000000002DD0: 807C3CFF 00000800
	buffer_load_dword v50, s[4:7], 0 offen lds                 // 000000002DD8: E0511000 80010032
	s_add_u32 m0, 0x900, s60                                   // 000000002DE0: 807C3CFF 00000900
	buffer_load_dword v51, s[4:7], 0 offen lds                 // 000000002DE8: E0511000 80010033
	s_add_u32 m0, 0xa00, s60                                   // 000000002DF0: 807C3CFF 00000A00
	buffer_load_dword v52, s[4:7], 0 offen lds                 // 000000002DF8: E0511000 80010034
	s_add_u32 m0, 0xb00, s60                                   // 000000002E00: 807C3CFF 00000B00
	buffer_load_dword v53, s[4:7], 0 offen lds                 // 000000002E08: E0511000 80010035
	s_add_u32 m0, 0xc00, s60                                   // 000000002E10: 807C3CFF 00000C00
	buffer_load_dword v54, s[4:7], 0 offen lds                 // 000000002E18: E0511000 80010036
	s_add_u32 m0, 0xd00, s60                                   // 000000002E20: 807C3CFF 00000D00
	buffer_load_dword v55, s[4:7], 0 offen lds                 // 000000002E28: E0511000 80010037
	s_add_u32 m0, 0xe00, s60                                   // 000000002E30: 807C3CFF 00000E00
	buffer_load_dword v56, s[4:7], 0 offen lds                 // 000000002E38: E0511000 80010038
	s_add_u32 m0, 0xf00, s60                                   // 000000002E40: 807C3CFF 00000F00
	buffer_load_dword v57, s[4:7], 0 offen lds                 // 000000002E48: E0511000 80010039
	s_mov_b32 s53, 0x100                                       // 000000002E50: BEB500FF 00000100
	s_add_u32 s50, 0x80, s53                                   // 000000002E58: 803235FF 00000080
	s_cmp_lt_u32 s50, s34                                      // 000000002E60: BF0A2232
	s_cselect_b32 s54, s54, 0                                  // 000000002E64: 85368036
	s_add_u32 s4, s54, s4                                      // 000000002E68: 80040436
	s_addc_u32 s5, 0, s5                                       // 000000002E6C: 82050580
	s_sub_u32 s6, s6, s54                                      // 000000002E70: 80863606
	buffer_load_dword v204, v239, s[20:23], 0 offen            // 000000002E74: E0501000 8005CCEF
	buffer_load_dword v205, v240, s[20:23], 0 offen            // 000000002E7C: E0501000 8005CDF0
	buffer_load_dword v206, v241, s[20:23], 0 offen            // 000000002E84: E0501000 8005CEF1
	buffer_load_dword v207, v242, s[20:23], 0 offen            // 000000002E8C: E0501000 8005CFF2
	buffer_load_dword v208, v243, s[20:23], 0 offen            // 000000002E94: E0501000 8005D0F3
	buffer_load_dword v209, v244, s[20:23], 0 offen            // 000000002E9C: E0501000 8005D1F4
	buffer_load_dword v210, v245, s[20:23], 0 offen            // 000000002EA4: E0501000 8005D2F5
	buffer_load_dword v211, v246, s[20:23], 0 offen            // 000000002EAC: E0501000 8005D3F6
	s_add_u32 s50, 0x80, s53                                   // 000000002EB4: 803235FF 00000080
	s_cmp_lt_u32 s50, s34                                      // 000000002EBC: BF0A2232
	s_cselect_b32 s56, s56, 0                                  // 000000002EC0: 85388038
	s_add_u32 s20, s56, s20                                    // 000000002EC4: 80141438
	s_addc_u32 s21, 0, s21                                     // 000000002EC8: 82151580
	v_mov_b32_e32 v140, 0                                      // 000000002ECC: 7F180280
	v_mov_b32_e32 v141, 0                                      // 000000002ED0: 7F1A0280
	v_mov_b32_e32 v142, 0                                      // 000000002ED4: 7F1C0280
	v_mov_b32_e32 v143, 0                                      // 000000002ED8: 7F1E0280
	v_mov_b32_e32 v144, 0                                      // 000000002EDC: 7F200280
	v_mov_b32_e32 v145, 0                                      // 000000002EE0: 7F220280
	v_mov_b32_e32 v146, 0                                      // 000000002EE4: 7F240280
	v_mov_b32_e32 v147, 0                                      // 000000002EE8: 7F260280
	v_mov_b32_e32 v148, 0                                      // 000000002EEC: 7F280280
	v_mov_b32_e32 v149, 0                                      // 000000002EF0: 7F2A0280
	v_mov_b32_e32 v150, 0                                      // 000000002EF4: 7F2C0280
	v_mov_b32_e32 v151, 0                                      // 000000002EF8: 7F2E0280
	v_mov_b32_e32 v152, 0                                      // 000000002EFC: 7F300280
	v_mov_b32_e32 v153, 0                                      // 000000002F00: 7F320280
	v_mov_b32_e32 v154, 0                                      // 000000002F04: 7F340280
	v_mov_b32_e32 v155, 0                                      // 000000002F08: 7F360280
	v_mov_b32_e32 v156, 0                                      // 000000002F0C: 7F380280
	v_mov_b32_e32 v157, 0                                      // 000000002F10: 7F3A0280
	v_mov_b32_e32 v158, 0                                      // 000000002F14: 7F3C0280
	v_mov_b32_e32 v159, 0                                      // 000000002F18: 7F3E0280
	v_mov_b32_e32 v160, 0                                      // 000000002F1C: 7F400280
	v_mov_b32_e32 v161, 0                                      // 000000002F20: 7F420280
	v_mov_b32_e32 v162, 0                                      // 000000002F24: 7F440280
	v_mov_b32_e32 v163, 0                                      // 000000002F28: 7F460280
	v_mov_b32_e32 v164, 0                                      // 000000002F2C: 7F480280
	v_mov_b32_e32 v165, 0                                      // 000000002F30: 7F4A0280
	v_mov_b32_e32 v166, 0                                      // 000000002F34: 7F4C0280
	v_mov_b32_e32 v167, 0                                      // 000000002F38: 7F4E0280
	v_mov_b32_e32 v168, 0                                      // 000000002F3C: 7F500280
	v_mov_b32_e32 v169, 0                                      // 000000002F40: 7F520280
	v_mov_b32_e32 v170, 0                                      // 000000002F44: 7F540280
	v_mov_b32_e32 v171, 0                                      // 000000002F48: 7F560280
	v_mov_b32_e32 v172, 0                                      // 000000002F4C: 7F580280
	v_mov_b32_e32 v173, 0                                      // 000000002F50: 7F5A0280
	v_mov_b32_e32 v174, 0                                      // 000000002F54: 7F5C0280
	v_mov_b32_e32 v175, 0                                      // 000000002F58: 7F5E0280
	v_mov_b32_e32 v176, 0                                      // 000000002F5C: 7F600280
	v_mov_b32_e32 v177, 0                                      // 000000002F60: 7F620280
	v_mov_b32_e32 v178, 0                                      // 000000002F64: 7F640280
	v_mov_b32_e32 v179, 0                                      // 000000002F68: 7F660280
	v_mov_b32_e32 v180, 0                                      // 000000002F6C: 7F680280
	v_mov_b32_e32 v181, 0                                      // 000000002F70: 7F6A0280
	v_mov_b32_e32 v182, 0                                      // 000000002F74: 7F6C0280
	v_mov_b32_e32 v183, 0                                      // 000000002F78: 7F6E0280
	v_mov_b32_e32 v184, 0                                      // 000000002F7C: 7F700280
	v_mov_b32_e32 v185, 0                                      // 000000002F80: 7F720280
	v_mov_b32_e32 v186, 0                                      // 000000002F84: 7F740280
	v_mov_b32_e32 v187, 0                                      // 000000002F88: 7F760280
	s_mov_b32 s43, s34                                         // 000000002F8C: BEAB0022
	s_mov_b32 s42, 0                                           // 000000002F90: BEAA0080
	s_waitcnt vmcnt(58)                                        // 000000002F94: BF8CCF7A
	s_barrier                                                  // 000000002F98: BF8A0000
	ds_read_b128 a[48:51], v58                                 // 000000002F9C: DBFE0000 3000003A
	ds_read_b128 a[52:55], v58 offset:64                       // 000000002FA4: DBFE0040 3400003A
	ds_read_b128 a[56:59], v58 offset:512                      // 000000002FAC: DBFE0200 3800003A
	ds_read_b128 a[60:63], v58 offset:576                      // 000000002FB4: DBFE0240 3C00003A
	ds_read_b128 a[64:67], v58 offset:1024                     // 000000002FBC: DBFE0400 4000003A
	ds_read_b128 a[68:71], v58 offset:1088                     // 000000002FC4: DBFE0440 4400003A
	ds_read_b128 a[72:75], v58 offset:1536                     // 000000002FCC: DBFE0600 4800003A
	ds_read_b128 a[76:79], v58 offset:1600                     // 000000002FD4: DBFE0640 4C00003A
	ds_read_b128 a[80:83], v58 offset:2048                     // 000000002FDC: DBFE0800 5000003A
	ds_read_b128 a[84:87], v58 offset:2112                     // 000000002FE4: DBFE0840 5400003A
	ds_read_b128 a[88:91], v58 offset:2560                     // 000000002FEC: DBFE0A00 5800003A
	ds_read_b128 a[92:95], v58 offset:2624                     // 000000002FF4: DBFE0A40 5C00003A
	ds_read_b128 a[96:99], v58 offset:3072                     // 000000002FFC: DBFE0C00 6000003A
	ds_read_b128 a[100:103], v58 offset:3136                   // 000000003004: DBFE0C40 6400003A
	ds_read_b128 a[104:107], v58 offset:3584                   // 00000000300C: DBFE0E00 6800003A
	ds_read_b128 a[108:111], v58 offset:3648                   // 000000003014: DBFE0E40 6C00003A
	s_mov_b32 s50, 0                                           // 00000000301C: BEB20080
	s_mov_b32 s51, 1.0                                         // 000000003020: BEB300F2
	s_cmp_eq_u32 s50, s75                                      // 000000003024: BF064B32
	s_cselect_b32 s50, s51, 0                                  // 000000003028: 85328033
	v_mul_f32_e64 v12, v12, s50                                // 00000000302C: D105000C 0000650C
	v_mul_f32_e64 v13, v13, s50                                // 000000003034: D105000D 0000650D
	v_mul_f32_e64 v14, v14, s50                                // 00000000303C: D105000E 0000650E
	v_mul_f32_e64 v15, v15, s50                                // 000000003044: D105000F 0000650F
	v_mul_f32_e64 v16, v16, s50                                // 00000000304C: D1050010 00006510
	v_mul_f32_e64 v17, v17, s50                                // 000000003054: D1050011 00006511
	v_mul_f32_e64 v18, v18, s50                                // 00000000305C: D1050012 00006512
	v_mul_f32_e64 v19, v19, s50                                // 000000003064: D1050013 00006513
	v_and_b32_e64 v20, v0, 15                                  // 00000000306C: D1130014 00011F00
	v_mul_lo_u32 v20, v20, s37                                 // 000000003074: D2850014 00004B14
	v_lshrrev_b32_e32 v4, 4, v0                                // 00000000307C: 20080084
	v_mul_i32_i24_e32 v4, 8, v4                                // 000000003080: 0C080888
	v_add_u32_e32 v20, v4, v20                                 // 000000003084: 68282904
	s_mul_i32 s50, 32, s47                                     // 000000003088: 92322FA0
	s_mul_i32 s50, 2, s50                                      // 00000000308C: 92323282
	v_add_u32_e32 v20, s50, v20                                // 000000003090: 68282832
	s_mul_i32 s50, 16, s37                                     // 000000003094: 92322590
	v_add_u32_e32 v21, s50, v20                                // 000000003098: 682A2832
	v_add_u32_e32 v22, s50, v21                                // 00000000309C: 682C2A32
	v_add_u32_e32 v23, s50, v22                                // 0000000030A0: 682E2C32
	v_add_u32_e32 v24, s50, v23                                // 0000000030A4: 68302E32
	v_add_u32_e32 v25, s50, v24                                // 0000000030A8: 68323032
	v_add_u32_e32 v26, s50, v25                                // 0000000030AC: 68343232
	v_add_u32_e32 v27, s50, v26                                // 0000000030B0: 68363432
	s_mul_i32 s50, s47, s37                                    // 0000000030B4: 9232252F
	v_lshlrev_b32_e32 v5, 2, v0                                // 0000000030B8: 240A0082
	v_add_u32_e32 v28, s50, v5                                 // 0000000030BC: 68380A32
	s_mul_i32 s50, s45, 0x80                                   // 0000000030C0: 9232FF2D 00000080
	s_add_i32 s77, s50, s47                                    // 0000000030C8: 814D2F32
	s_cmp_lt_i32 s42, s43                                      // 0000000030CC: BF042B2A
	s_cbranch_scc0 label_0BEC                                  // 0000000030D0: BF840877

00000000000030d4 <label_0375>:
	s_waitcnt vmcnt(28) lgkmcnt(0)                             // 0000000030D4: BF8C407C
	s_barrier                                                  // 0000000030D8: BF8A0000
	v_mfma_f32_16x16x32_fp8_fp8 v[60:63], a[0:1], a[48:49], 0  // 0000000030DC: D3F3003C 1A026100
	s_add_u32 m0, 0, s58                                       // 0000000030E4: 807C3A80
	buffer_load_dword v42, s[4:7], 0 offen lds                 // 0000000030E8: E0511000 8001002A
	v_mfma_f32_16x16x32_fp8_fp8 v[60:63], a[2:3], a[50:51], v[60:63]// 0000000030F0: D3F3003C 1CF26502
	ds_read_b128 a[112:115], v58 offset:16512                  // 0000000030F8: DBFE4080 7000003A
	v_mfma_f32_16x16x32_fp8_fp8 v[60:63], a[4:5], a[52:53], v[60:63]// 000000003100: D3F3003C 1CF26904
	s_add_u32 m0, 0x100, s58                                   // 000000003108: 807C3AFF 00000100
	buffer_load_dword v43, s[4:7], 0 offen lds                 // 000000003110: E0511000 8001002B
	v_mfma_f32_16x16x32_fp8_fp8 v[60:63], a[6:7], a[54:55], v[60:63]// 000000003118: D3F3003C 1CF26D06
	ds_read_b128 a[116:119], v58 offset:16576                  // 000000003120: DBFE40C0 7400003A
	v_mul_f32_e32 v4, v236, v188                               // 000000003128: 0A0979EC
	v_mov_b32_e32 v5, v4                                       // 00000000312C: 7E0A0304
	v_mfma_f32_16x16x32_fp8_fp8 v[64:67], a[8:9], a[48:49], 0  // 000000003130: D3F30040 1A026108
	buffer_load_dwordx4 a[32:35], v38, s[8:11], 0 offen        // 000000003138: E05C1000 80822026
	v_mfma_f32_16x16x32_fp8_fp8 v[64:67], a[10:11], a[50:51], v[64:67]// 000000003140: D3F30040 1D02650A
	buffer_load_dword v188, v239, s[20:23], 0 offen            // 000000003148: E0501000 8005BCEF
	v_mfma_f32_16x16x32_fp8_fp8 v[64:67], a[12:13], a[52:53], v[64:67]// 000000003150: D3F30040 1D02690C
	buffer_load_dwordx4 a[36:39], v39, s[8:11], 0 offen        // 000000003158: E05C1000 80822427
	v_mfma_f32_16x16x32_fp8_fp8 v[64:67], a[14:15], a[54:55], v[64:67]// 000000003160: D3F30040 1D026D0E
	v_pk_fma_f32 v[124:125], v[4:5], v[60:61], v[124:125]      // 000000003168: D3B0407C 1DF27904
	v_pk_fma_f32 v[126:127], v[4:5], v[62:63], v[126:127]      // 000000003170: D3B0407E 1DFA7D04
	v_pk_fma_f32 v[128:129], v[4:5], v[64:65], v[128:129]      // 000000003178: D3B04080 1E028104
	v_pk_fma_f32 v[130:131], v[4:5], v[66:67], v[130:131]      // 000000003180: D3B04082 1E0A8504
	v_mfma_f32_16x16x32_fp8_fp8 v[68:71], a[0:1], a[56:57], 0  // 000000003188: D3F30044 1A027100
	s_add_u32 m0, 0x200, s58                                   // 000000003190: 807C3AFF 00000200
	buffer_load_dword v44, s[4:7], 0 offen lds                 // 000000003198: E0511000 8001002C
	v_mfma_f32_16x16x32_fp8_fp8 v[68:71], a[2:3], a[58:59], v[68:71]// 0000000031A0: D3F30044 1D127502
	ds_read_b128 a[120:123], v58 offset:17024                  // 0000000031A8: DBFE4280 7800003A
	v_mfma_f32_16x16x32_fp8_fp8 v[68:71], a[4:5], a[60:61], v[68:71]// 0000000031B0: D3F30044 1D127904
	s_add_u32 m0, 0x300, s58                                   // 0000000031B8: 807C3AFF 00000300
	buffer_load_dword v45, s[4:7], 0 offen lds                 // 0000000031C0: E0511000 8001002D
	v_mfma_f32_16x16x32_fp8_fp8 v[68:71], a[6:7], a[62:63], v[68:71]// 0000000031C8: D3F30044 1D127D06
	ds_read_b128 a[124:127], v58 offset:17088                  // 0000000031D0: DBFE42C0 7C00003A
	v_mul_f32_e32 v4, v236, v189                               // 0000000031D8: 0A097BEC
	v_mov_b32_e32 v5, v4                                       // 0000000031DC: 7E0A0304
	v_mfma_f32_16x16x32_fp8_fp8 v[72:75], a[8:9], a[56:57], 0  // 0000000031E0: D3F30048 1A027108
	buffer_load_dwordx4 a[40:43], v40, s[8:11], 0 offen        // 0000000031E8: E05C1000 80822828
	v_mfma_f32_16x16x32_fp8_fp8 v[72:75], a[10:11], a[58:59], v[72:75]// 0000000031F0: D3F30048 1D22750A
	buffer_load_dword v189, v240, s[20:23], 0 offen            // 0000000031F8: E0501000 8005BDF0
	v_mfma_f32_16x16x32_fp8_fp8 v[72:75], a[12:13], a[60:61], v[72:75]// 000000003200: D3F30048 1D22790C
	buffer_load_dwordx4 a[44:47], v41, s[8:11], 0 offen        // 000000003208: E05C1000 80822C29
	v_mfma_f32_16x16x32_fp8_fp8 v[72:75], a[14:15], a[62:63], v[72:75]// 000000003210: D3F30048 1D227D0E
	v_pk_fma_f32 v[132:133], v[4:5], v[68:69], v[132:133]      // 000000003218: D3B04084 1E128904
	v_pk_fma_f32 v[134:135], v[4:5], v[70:71], v[134:135]      // 000000003220: D3B04086 1E1A8D04
	v_pk_fma_f32 v[136:137], v[4:5], v[72:73], v[136:137]      // 000000003228: D3B04088 1E229104
	v_pk_fma_f32 v[138:139], v[4:5], v[74:75], v[138:139]      // 000000003230: D3B0408A 1E2A9504
	v_mfma_f32_16x16x32_fp8_fp8 v[76:79], a[0:1], a[64:65], 0  // 000000003238: D3F3004C 1A028100
	s_add_u32 m0, 0x400, s58                                   // 000000003240: 807C3AFF 00000400
	buffer_load_dword v46, s[4:7], 0 offen lds                 // 000000003248: E0511000 8001002E
	v_mfma_f32_16x16x32_fp8_fp8 v[76:79], a[2:3], a[66:67], v[76:79]// 000000003250: D3F3004C 1D328502
	ds_read_b128 a[128:131], v58 offset:17536                  // 000000003258: DBFE4480 8000003A
	v_mfma_f32_16x16x32_fp8_fp8 v[76:79], a[4:5], a[68:69], v[76:79]// 000000003260: D3F3004C 1D328904
	s_add_u32 m0, 0x500, s58                                   // 000000003268: 807C3AFF 00000500
	buffer_load_dword v47, s[4:7], 0 offen lds                 // 000000003270: E0511000 8001002F
	v_mfma_f32_16x16x32_fp8_fp8 v[76:79], a[6:7], a[70:71], v[76:79]// 000000003278: D3F3004C 1D328D06
	ds_read_b128 a[132:135], v58 offset:17600                  // 000000003280: DBFE44C0 8400003A
	v_mul_f32_e32 v4, v236, v190                               // 000000003288: 0A097DEC
	v_mov_b32_e32 v5, v4                                       // 00000000328C: 7E0A0304
	v_mfma_f32_16x16x32_fp8_fp8 v[80:83], a[8:9], a[64:65], 0  // 000000003290: D3F30050 1A028108
	v_mfma_f32_16x16x32_fp8_fp8 v[80:83], a[10:11], a[66:67], v[80:83]// 000000003298: D3F30050 1D42850A
	buffer_load_dword v190, v241, s[20:23], 0 offen            // 0000000032A0: E0501000 8005BEF1
	v_mfma_f32_16x16x32_fp8_fp8 v[80:83], a[12:13], a[68:69], v[80:83]// 0000000032A8: D3F30050 1D42890C
	v_mfma_f32_16x16x32_fp8_fp8 v[80:83], a[14:15], a[70:71], v[80:83]// 0000000032B0: D3F30050 1D428D0E
	v_pk_fma_f32 v[140:141], v[4:5], v[76:77], v[140:141]      // 0000000032B8: D3B0408C 1E329904
	v_pk_fma_f32 v[142:143], v[4:5], v[78:79], v[142:143]      // 0000000032C0: D3B0408E 1E3A9D04
	v_pk_fma_f32 v[144:145], v[4:5], v[80:81], v[144:145]      // 0000000032C8: D3B04090 1E42A104
	v_pk_fma_f32 v[146:147], v[4:5], v[82:83], v[146:147]      // 0000000032D0: D3B04092 1E4AA504
	v_mfma_f32_16x16x32_fp8_fp8 v[84:87], a[0:1], a[72:73], 0  // 0000000032D8: D3F30054 1A029100
	s_add_u32 m0, 0x600, s58                                   // 0000000032E0: 807C3AFF 00000600
	buffer_load_dword v48, s[4:7], 0 offen lds                 // 0000000032E8: E0511000 80010030
	v_mfma_f32_16x16x32_fp8_fp8 v[84:87], a[2:3], a[74:75], v[84:87]// 0000000032F0: D3F30054 1D529502
	ds_read_b128 a[136:139], v58 offset:18048                  // 0000000032F8: DBFE4680 8800003A
	v_mfma_f32_16x16x32_fp8_fp8 v[84:87], a[4:5], a[76:77], v[84:87]// 000000003300: D3F30054 1D529904
	s_add_u32 m0, 0x700, s58                                   // 000000003308: 807C3AFF 00000700
	buffer_load_dword v49, s[4:7], 0 offen lds                 // 000000003310: E0511000 80010031
	v_mfma_f32_16x16x32_fp8_fp8 v[84:87], a[6:7], a[78:79], v[84:87]// 000000003318: D3F30054 1D529D06
	ds_read_b128 a[140:143], v58 offset:18112                  // 000000003320: DBFE46C0 8C00003A
	v_mul_f32_e32 v4, v236, v191                               // 000000003328: 0A097FEC
	v_mov_b32_e32 v5, v4                                       // 00000000332C: 7E0A0304
	v_mfma_f32_16x16x32_fp8_fp8 v[88:91], a[8:9], a[72:73], 0  // 000000003330: D3F30058 1A029108
	v_mfma_f32_16x16x32_fp8_fp8 v[88:91], a[10:11], a[74:75], v[88:91]// 000000003338: D3F30058 1D62950A
	buffer_load_dword v191, v242, s[20:23], 0 offen            // 000000003340: E0501000 8005BFF2
	v_mfma_f32_16x16x32_fp8_fp8 v[88:91], a[12:13], a[76:77], v[88:91]// 000000003348: D3F30058 1D62990C
	v_mfma_f32_16x16x32_fp8_fp8 v[88:91], a[14:15], a[78:79], v[88:91]// 000000003350: D3F30058 1D629D0E
	v_pk_fma_f32 v[148:149], v[4:5], v[84:85], v[148:149]      // 000000003358: D3B04094 1E52A904
	v_pk_fma_f32 v[150:151], v[4:5], v[86:87], v[150:151]      // 000000003360: D3B04096 1E5AAD04
	v_pk_fma_f32 v[152:153], v[4:5], v[88:89], v[152:153]      // 000000003368: D3B04098 1E62B104
	v_pk_fma_f32 v[154:155], v[4:5], v[90:91], v[154:155]      // 000000003370: D3B0409A 1E6AB504
	v_mfma_f32_16x16x32_fp8_fp8 v[92:95], a[0:1], a[80:81], 0  // 000000003378: D3F3005C 1A02A100
	s_add_u32 m0, 0x800, s58                                   // 000000003380: 807C3AFF 00000800
	buffer_load_dword v50, s[4:7], 0 offen lds                 // 000000003388: E0511000 80010032
	v_mfma_f32_16x16x32_fp8_fp8 v[92:95], a[2:3], a[82:83], v[92:95]// 000000003390: D3F3005C 1D72A502
	ds_read_b128 a[144:147], v58 offset:18560                  // 000000003398: DBFE4880 9000003A
	v_mfma_f32_16x16x32_fp8_fp8 v[92:95], a[4:5], a[84:85], v[92:95]// 0000000033A0: D3F3005C 1D72A904
	s_add_u32 m0, 0x900, s58                                   // 0000000033A8: 807C3AFF 00000900
	buffer_load_dword v51, s[4:7], 0 offen lds                 // 0000000033B0: E0511000 80010033
	v_mfma_f32_16x16x32_fp8_fp8 v[92:95], a[6:7], a[86:87], v[92:95]// 0000000033B8: D3F3005C 1D72AD06
	ds_read_b128 a[148:151], v58 offset:18624                  // 0000000033C0: DBFE48C0 9400003A
	v_mul_f32_e32 v4, v236, v192                               // 0000000033C8: 0A0981EC
	v_mov_b32_e32 v5, v4                                       // 0000000033CC: 7E0A0304
	v_mfma_f32_16x16x32_fp8_fp8 v[96:99], a[8:9], a[80:81], 0  // 0000000033D0: D3F30060 1A02A108
	v_mfma_f32_16x16x32_fp8_fp8 v[96:99], a[10:11], a[82:83], v[96:99]// 0000000033D8: D3F30060 1D82A50A
	buffer_load_dword v192, v243, s[20:23], 0 offen            // 0000000033E0: E0501000 8005C0F3
	v_mfma_f32_16x16x32_fp8_fp8 v[96:99], a[12:13], a[84:85], v[96:99]// 0000000033E8: D3F30060 1D82A90C
	v_mfma_f32_16x16x32_fp8_fp8 v[96:99], a[14:15], a[86:87], v[96:99]// 0000000033F0: D3F30060 1D82AD0E
	v_pk_fma_f32 v[156:157], v[4:5], v[92:93], v[156:157]      // 0000000033F8: D3B0409C 1E72B904
	v_pk_fma_f32 v[158:159], v[4:5], v[94:95], v[158:159]      // 000000003400: D3B0409E 1E7ABD04
	v_pk_fma_f32 v[160:161], v[4:5], v[96:97], v[160:161]      // 000000003408: D3B040A0 1E82C104
	v_pk_fma_f32 v[162:163], v[4:5], v[98:99], v[162:163]      // 000000003410: D3B040A2 1E8AC504
	v_mfma_f32_16x16x32_fp8_fp8 v[100:103], a[0:1], a[88:89], 0// 000000003418: D3F30064 1A02B100
	s_add_u32 m0, 0xa00, s58                                   // 000000003420: 807C3AFF 00000A00
	buffer_load_dword v52, s[4:7], 0 offen lds                 // 000000003428: E0511000 80010034
	v_mfma_f32_16x16x32_fp8_fp8 v[100:103], a[2:3], a[90:91], v[100:103]// 000000003430: D3F30064 1D92B502
	ds_read_b128 a[152:155], v58 offset:19072                  // 000000003438: DBFE4A80 9800003A
	v_mfma_f32_16x16x32_fp8_fp8 v[100:103], a[4:5], a[92:93], v[100:103]// 000000003440: D3F30064 1D92B904
	s_add_u32 m0, 0xb00, s58                                   // 000000003448: 807C3AFF 00000B00
	buffer_load_dword v53, s[4:7], 0 offen lds                 // 000000003450: E0511000 80010035
	v_mfma_f32_16x16x32_fp8_fp8 v[100:103], a[6:7], a[94:95], v[100:103]// 000000003458: D3F30064 1D92BD06
	ds_read_b128 a[156:159], v58 offset:19136                  // 000000003460: DBFE4AC0 9C00003A
	v_mul_f32_e32 v4, v236, v193                               // 000000003468: 0A0983EC
	v_mov_b32_e32 v5, v4                                       // 00000000346C: 7E0A0304
	v_mfma_f32_16x16x32_fp8_fp8 v[104:107], a[8:9], a[88:89], 0// 000000003470: D3F30068 1A02B108
	v_mfma_f32_16x16x32_fp8_fp8 v[104:107], a[10:11], a[90:91], v[104:107]// 000000003478: D3F30068 1DA2B50A
	buffer_load_dword v193, v244, s[20:23], 0 offen            // 000000003480: E0501000 8005C1F4
	v_mfma_f32_16x16x32_fp8_fp8 v[104:107], a[12:13], a[92:93], v[104:107]// 000000003488: D3F30068 1DA2B90C
	v_mfma_f32_16x16x32_fp8_fp8 v[104:107], a[14:15], a[94:95], v[104:107]// 000000003490: D3F30068 1DA2BD0E
	v_pk_fma_f32 v[164:165], v[4:5], v[100:101], v[164:165]    // 000000003498: D3B040A4 1E92C904
	v_pk_fma_f32 v[166:167], v[4:5], v[102:103], v[166:167]    // 0000000034A0: D3B040A6 1E9ACD04
	v_pk_fma_f32 v[168:169], v[4:5], v[104:105], v[168:169]    // 0000000034A8: D3B040A8 1EA2D104
	v_pk_fma_f32 v[170:171], v[4:5], v[106:107], v[170:171]    // 0000000034B0: D3B040AA 1EAAD504
	v_mfma_f32_16x16x32_fp8_fp8 v[108:111], a[0:1], a[96:97], 0// 0000000034B8: D3F3006C 1A02C100
	s_add_u32 m0, 0xc00, s58                                   // 0000000034C0: 807C3AFF 00000C00
	buffer_load_dword v54, s[4:7], 0 offen lds                 // 0000000034C8: E0511000 80010036
	v_mfma_f32_16x16x32_fp8_fp8 v[108:111], a[2:3], a[98:99], v[108:111]// 0000000034D0: D3F3006C 1DB2C502
	ds_read_b128 a[160:163], v58 offset:19584                  // 0000000034D8: DBFE4C80 A000003A
	v_mfma_f32_16x16x32_fp8_fp8 v[108:111], a[4:5], a[100:101], v[108:111]// 0000000034E0: D3F3006C 1DB2C904
	s_add_u32 m0, 0xd00, s58                                   // 0000000034E8: 807C3AFF 00000D00
	buffer_load_dword v55, s[4:7], 0 offen lds                 // 0000000034F0: E0511000 80010037
	v_mfma_f32_16x16x32_fp8_fp8 v[108:111], a[6:7], a[102:103], v[108:111]// 0000000034F8: D3F3006C 1DB2CD06
	ds_read_b128 a[164:167], v58 offset:19648                  // 000000003500: DBFE4CC0 A400003A
	v_mul_f32_e32 v4, v236, v194                               // 000000003508: 0A0985EC
	v_mov_b32_e32 v5, v4                                       // 00000000350C: 7E0A0304
	v_mfma_f32_16x16x32_fp8_fp8 v[112:115], a[8:9], a[96:97], 0// 000000003510: D3F30070 1A02C108
	v_mfma_f32_16x16x32_fp8_fp8 v[112:115], a[10:11], a[98:99], v[112:115]// 000000003518: D3F30070 1DC2C50A
	buffer_load_dword v194, v245, s[20:23], 0 offen            // 000000003520: E0501000 8005C2F5
	v_mfma_f32_16x16x32_fp8_fp8 v[112:115], a[12:13], a[100:101], v[112:115]// 000000003528: D3F30070 1DC2C90C
	v_mfma_f32_16x16x32_fp8_fp8 v[112:115], a[14:15], a[102:103], v[112:115]// 000000003530: D3F30070 1DC2CD0E
	v_pk_fma_f32 v[172:173], v[4:5], v[108:109], v[172:173]    // 000000003538: D3B040AC 1EB2D904
	v_pk_fma_f32 v[174:175], v[4:5], v[110:111], v[174:175]    // 000000003540: D3B040AE 1EBADD04
	v_pk_fma_f32 v[176:177], v[4:5], v[112:113], v[176:177]    // 000000003548: D3B040B0 1EC2E104
	v_pk_fma_f32 v[178:179], v[4:5], v[114:115], v[178:179]    // 000000003550: D3B040B2 1ECAE504
	v_mfma_f32_16x16x32_fp8_fp8 v[116:119], a[0:1], a[104:105], 0// 000000003558: D3F30074 1A02D100
	s_add_u32 m0, 0xe00, s58                                   // 000000003560: 807C3AFF 00000E00
	buffer_load_dword v56, s[4:7], 0 offen lds                 // 000000003568: E0511000 80010038
	v_mfma_f32_16x16x32_fp8_fp8 v[116:119], a[2:3], a[106:107], v[116:119]// 000000003570: D3F30074 1DD2D502
	ds_read_b128 a[168:171], v58 offset:20096                  // 000000003578: DBFE4E80 A800003A
	v_mfma_f32_16x16x32_fp8_fp8 v[116:119], a[4:5], a[108:109], v[116:119]// 000000003580: D3F30074 1DD2D904
	s_add_u32 m0, 0xf00, s58                                   // 000000003588: 807C3AFF 00000F00
	buffer_load_dword v57, s[4:7], 0 offen lds                 // 000000003590: E0511000 80010039
	v_mfma_f32_16x16x32_fp8_fp8 v[116:119], a[6:7], a[110:111], v[116:119]// 000000003598: D3F30074 1DD2DD06
	ds_read_b128 a[172:175], v58 offset:20160                  // 0000000035A0: DBFE4EC0 AC00003A
	v_mul_f32_e32 v4, v236, v195                               // 0000000035A8: 0A0987EC
	v_mov_b32_e32 v5, v4                                       // 0000000035AC: 7E0A0304
	v_mfma_f32_16x16x32_fp8_fp8 v[120:123], a[8:9], a[104:105], 0// 0000000035B0: D3F30078 1A02D108
	v_mfma_f32_16x16x32_fp8_fp8 v[120:123], a[10:11], a[106:107], v[120:123]// 0000000035B8: D3F30078 1DE2D50A
	buffer_load_dword v195, v246, s[20:23], 0 offen            // 0000000035C0: E0501000 8005C3F6
	s_add_u32 s50, 0x200, s42                                  // 0000000035C8: 80322AFF 00000200
	s_cmp_lt_u32 s50, s43                                      // 0000000035D0: BF0A2B32
	s_cselect_b32 s54, s54, 0                                  // 0000000035D4: 85368036
	s_add_u32 s50, 0x180, s42                                  // 0000000035D8: 80322AFF 00000180
	s_cmp_lt_u32 s50, s43                                      // 0000000035E0: BF0A2B32
	s_cselect_b32 s55, s55, 0                                  // 0000000035E4: 85378037
	s_add_u32 s50, 0x200, s42                                  // 0000000035E8: 80322AFF 00000200
	s_cmp_lt_u32 s50, s43                                      // 0000000035F0: BF0A2B32
	s_cselect_b32 s56, s56, 0                                  // 0000000035F4: 85388038
	s_add_u32 s50, 0x180, s42                                  // 0000000035F8: 80322AFF 00000180
	s_cmp_lt_u32 s50, s43                                      // 000000003600: BF0A2B32
	s_cselect_b32 s57, s57, 0                                  // 000000003604: 85398039
	v_mfma_f32_16x16x32_fp8_fp8 v[120:123], a[12:13], a[108:109], v[120:123]// 000000003608: D3F30078 1DE2D90C
	v_mfma_f32_16x16x32_fp8_fp8 v[120:123], a[14:15], a[110:111], v[120:123]// 000000003610: D3F30078 1DE2DD0E
	buffer_load_dword v238, v255, s[24:27], 0 offen            // 000000003618: E0501000 8006EEFF
	s_add_u32 s4, s54, s4                                      // 000000003620: 80040436
	s_addc_u32 s5, 0, s5                                       // 000000003624: 82050580
	s_sub_u32 s6, s6, s54                                      // 000000003628: 80863606
	s_add_u32 s8, s55, s8                                      // 00000000362C: 80080837
	s_addc_u32 s9, 0, s9                                       // 000000003630: 82090980
	s_sub_u32 s10, s10, s55                                    // 000000003634: 808A370A
	s_add_u32 s20, s56, s20                                    // 000000003638: 80141438
	s_addc_u32 s21, 0, s21                                     // 00000000363C: 82151580
	s_add_u32 s24, s57, s24                                    // 000000003640: 80181839
	s_addc_u32 s25, 0, s25                                     // 000000003644: 82191980
	s_sub_u32 s26, s26, s57                                    // 000000003648: 809A391A
	v_pk_fma_f32 v[180:181], v[4:5], v[116:117], v[180:181]    // 00000000364C: D3B040B4 1ED2E904
	v_pk_fma_f32 v[182:183], v[4:5], v[118:119], v[182:183]    // 000000003654: D3B040B6 1EDAED04
	v_pk_fma_f32 v[184:185], v[4:5], v[120:121], v[184:185]    // 00000000365C: D3B040B8 1EE2F104
	v_pk_fma_f32 v[186:187], v[4:5], v[122:123], v[186:187]    // 000000003664: D3B040BA 1EEAF504
	s_addk_i32 s42, 0x80                                       // 00000000366C: B72A0080
	s_cmp_lt_i32 s42, s43                                      // 000000003670: BF042B2A
	s_cbranch_scc0 label_0BEC                                  // 000000003674: BF84070E
	s_waitcnt vmcnt(28) lgkmcnt(0)                             // 000000003678: BF8C407C
	s_barrier                                                  // 00000000367C: BF8A0000
	v_mfma_f32_16x16x32_fp8_fp8 v[60:63], a[16:17], a[112:113], 0// 000000003680: D3F3003C 1A02E110
	s_add_u32 m0, 0, s59                                       // 000000003688: 807C3B80
	buffer_load_dword v42, s[4:7], 0 offen lds                 // 00000000368C: E0511000 8001002A
	v_mfma_f32_16x16x32_fp8_fp8 v[60:63], a[18:19], a[114:115], v[60:63]// 000000003694: D3F3003C 1CF2E512
	ds_read_b128 a[48:51], v58 offset:33024                    // 00000000369C: DBFE8100 3000003A
	v_mfma_f32_16x16x32_fp8_fp8 v[60:63], a[20:21], a[116:117], v[60:63]// 0000000036A4: D3F3003C 1CF2E914
	s_add_u32 m0, 0x100, s59                                   // 0000000036AC: 807C3BFF 00000100
	buffer_load_dword v43, s[4:7], 0 offen lds                 // 0000000036B4: E0511000 8001002B
	v_mfma_f32_16x16x32_fp8_fp8 v[60:63], a[22:23], a[118:119], v[60:63]// 0000000036BC: D3F3003C 1CF2ED16
	ds_read_b128 a[52:55], v58 offset:33088                    // 0000000036C4: DBFE8140 3400003A
	v_mul_f32_e32 v4, v237, v196                               // 0000000036CC: 0A0989ED
	v_mov_b32_e32 v5, v4                                       // 0000000036D0: 7E0A0304
	v_mfma_f32_16x16x32_fp8_fp8 v[64:67], a[24:25], a[112:113], 0// 0000000036D4: D3F30040 1A02E118
	buffer_load_dwordx4 a[0:3], v38, s[8:11], 0 offen          // 0000000036DC: E05C1000 80820026
	v_mfma_f32_16x16x32_fp8_fp8 v[64:67], a[26:27], a[114:115], v[64:67]// 0000000036E4: D3F30040 1D02E51A
	buffer_load_dword v196, v239, s[20:23], 0 offen            // 0000000036EC: E0501000 8005C4EF
	v_mfma_f32_16x16x32_fp8_fp8 v[64:67], a[28:29], a[116:117], v[64:67]// 0000000036F4: D3F30040 1D02E91C
	buffer_load_dwordx4 a[4:7], v39, s[8:11], 0 offen          // 0000000036FC: E05C1000 80820427
	v_mfma_f32_16x16x32_fp8_fp8 v[64:67], a[30:31], a[118:119], v[64:67]// 000000003704: D3F30040 1D02ED1E
	v_pk_fma_f32 v[124:125], v[4:5], v[60:61], v[124:125]      // 00000000370C: D3B0407C 1DF27904
	v_pk_fma_f32 v[126:127], v[4:5], v[62:63], v[126:127]      // 000000003714: D3B0407E 1DFA7D04
	v_pk_fma_f32 v[128:129], v[4:5], v[64:65], v[128:129]      // 00000000371C: D3B04080 1E028104
	v_pk_fma_f32 v[130:131], v[4:5], v[66:67], v[130:131]      // 000000003724: D3B04082 1E0A8504
	v_mfma_f32_16x16x32_fp8_fp8 v[68:71], a[16:17], a[120:121], 0// 00000000372C: D3F30044 1A02F110
	s_add_u32 m0, 0x200, s59                                   // 000000003734: 807C3BFF 00000200
	buffer_load_dword v44, s[4:7], 0 offen lds                 // 00000000373C: E0511000 8001002C
	v_mfma_f32_16x16x32_fp8_fp8 v[68:71], a[18:19], a[122:123], v[68:71]// 000000003744: D3F30044 1D12F512
	ds_read_b128 a[56:59], v58 offset:33536                    // 00000000374C: DBFE8300 3800003A
	v_mfma_f32_16x16x32_fp8_fp8 v[68:71], a[20:21], a[124:125], v[68:71]// 000000003754: D3F30044 1D12F914
	s_add_u32 m0, 0x300, s59                                   // 00000000375C: 807C3BFF 00000300
	buffer_load_dword v45, s[4:7], 0 offen lds                 // 000000003764: E0511000 8001002D
	v_mfma_f32_16x16x32_fp8_fp8 v[68:71], a[22:23], a[126:127], v[68:71]// 00000000376C: D3F30044 1D12FD16
	ds_read_b128 a[60:63], v58 offset:33600                    // 000000003774: DBFE8340 3C00003A
	v_mul_f32_e32 v4, v237, v197                               // 00000000377C: 0A098BED
	v_mov_b32_e32 v5, v4                                       // 000000003780: 7E0A0304
	v_mfma_f32_16x16x32_fp8_fp8 v[72:75], a[24:25], a[120:121], 0// 000000003784: D3F30048 1A02F118
	buffer_load_dwordx4 a[8:11], v40, s[8:11], 0 offen         // 00000000378C: E05C1000 80820828
	v_mfma_f32_16x16x32_fp8_fp8 v[72:75], a[26:27], a[122:123], v[72:75]// 000000003794: D3F30048 1D22F51A
	buffer_load_dword v197, v240, s[20:23], 0 offen            // 00000000379C: E0501000 8005C5F0
	v_mfma_f32_16x16x32_fp8_fp8 v[72:75], a[28:29], a[124:125], v[72:75]// 0000000037A4: D3F30048 1D22F91C
	buffer_load_dwordx4 a[12:15], v41, s[8:11], 0 offen        // 0000000037AC: E05C1000 80820C29
	v_mfma_f32_16x16x32_fp8_fp8 v[72:75], a[30:31], a[126:127], v[72:75]// 0000000037B4: D3F30048 1D22FD1E
	v_pk_fma_f32 v[132:133], v[4:5], v[68:69], v[132:133]      // 0000000037BC: D3B04084 1E128904
	v_pk_fma_f32 v[134:135], v[4:5], v[70:71], v[134:135]      // 0000000037C4: D3B04086 1E1A8D04
	v_pk_fma_f32 v[136:137], v[4:5], v[72:73], v[136:137]      // 0000000037CC: D3B04088 1E229104
	v_pk_fma_f32 v[138:139], v[4:5], v[74:75], v[138:139]      // 0000000037D4: D3B0408A 1E2A9504
	v_mfma_f32_16x16x32_fp8_fp8 v[76:79], a[16:17], a[128:129], 0// 0000000037DC: D3F3004C 1A030110
	s_add_u32 m0, 0x400, s59                                   // 0000000037E4: 807C3BFF 00000400
	buffer_load_dword v46, s[4:7], 0 offen lds                 // 0000000037EC: E0511000 8001002E
	v_mfma_f32_16x16x32_fp8_fp8 v[76:79], a[18:19], a[130:131], v[76:79]// 0000000037F4: D3F3004C 1D330512
	ds_read_b128 a[64:67], v58 offset:34048                    // 0000000037FC: DBFE8500 4000003A
	v_mfma_f32_16x16x32_fp8_fp8 v[76:79], a[20:21], a[132:133], v[76:79]// 000000003804: D3F3004C 1D330914
	s_add_u32 m0, 0x500, s59                                   // 00000000380C: 807C3BFF 00000500
	buffer_load_dword v47, s[4:7], 0 offen lds                 // 000000003814: E0511000 8001002F
	v_mfma_f32_16x16x32_fp8_fp8 v[76:79], a[22:23], a[134:135], v[76:79]// 00000000381C: D3F3004C 1D330D16
	ds_read_b128 a[68:71], v58 offset:34112                    // 000000003824: DBFE8540 4400003A
	v_mul_f32_e32 v4, v237, v198                               // 00000000382C: 0A098DED
	v_mov_b32_e32 v5, v4                                       // 000000003830: 7E0A0304
	v_mfma_f32_16x16x32_fp8_fp8 v[80:83], a[24:25], a[128:129], 0// 000000003834: D3F30050 1A030118
	v_mfma_f32_16x16x32_fp8_fp8 v[80:83], a[26:27], a[130:131], v[80:83]// 00000000383C: D3F30050 1D43051A
	buffer_load_dword v198, v241, s[20:23], 0 offen            // 000000003844: E0501000 8005C6F1
	v_mfma_f32_16x16x32_fp8_fp8 v[80:83], a[28:29], a[132:133], v[80:83]// 00000000384C: D3F30050 1D43091C
	v_mfma_f32_16x16x32_fp8_fp8 v[80:83], a[30:31], a[134:135], v[80:83]// 000000003854: D3F30050 1D430D1E
	v_pk_fma_f32 v[140:141], v[4:5], v[76:77], v[140:141]      // 00000000385C: D3B0408C 1E329904
	v_pk_fma_f32 v[142:143], v[4:5], v[78:79], v[142:143]      // 000000003864: D3B0408E 1E3A9D04
	v_pk_fma_f32 v[144:145], v[4:5], v[80:81], v[144:145]      // 00000000386C: D3B04090 1E42A104
	v_pk_fma_f32 v[146:147], v[4:5], v[82:83], v[146:147]      // 000000003874: D3B04092 1E4AA504
	v_mfma_f32_16x16x32_fp8_fp8 v[84:87], a[16:17], a[136:137], 0// 00000000387C: D3F30054 1A031110
	s_add_u32 m0, 0x600, s59                                   // 000000003884: 807C3BFF 00000600
	buffer_load_dword v48, s[4:7], 0 offen lds                 // 00000000388C: E0511000 80010030
	v_mfma_f32_16x16x32_fp8_fp8 v[84:87], a[18:19], a[138:139], v[84:87]// 000000003894: D3F30054 1D531512
	ds_read_b128 a[72:75], v58 offset:34560                    // 00000000389C: DBFE8700 4800003A
	v_mfma_f32_16x16x32_fp8_fp8 v[84:87], a[20:21], a[140:141], v[84:87]// 0000000038A4: D3F30054 1D531914
	s_add_u32 m0, 0x700, s59                                   // 0000000038AC: 807C3BFF 00000700
	buffer_load_dword v49, s[4:7], 0 offen lds                 // 0000000038B4: E0511000 80010031
	v_mfma_f32_16x16x32_fp8_fp8 v[84:87], a[22:23], a[142:143], v[84:87]// 0000000038BC: D3F30054 1D531D16
	ds_read_b128 a[76:79], v58 offset:34624                    // 0000000038C4: DBFE8740 4C00003A
	v_mul_f32_e32 v4, v237, v199                               // 0000000038CC: 0A098FED
	v_mov_b32_e32 v5, v4                                       // 0000000038D0: 7E0A0304
	v_mfma_f32_16x16x32_fp8_fp8 v[88:91], a[24:25], a[136:137], 0// 0000000038D4: D3F30058 1A031118
	v_mfma_f32_16x16x32_fp8_fp8 v[88:91], a[26:27], a[138:139], v[88:91]// 0000000038DC: D3F30058 1D63151A
	buffer_load_dword v199, v242, s[20:23], 0 offen            // 0000000038E4: E0501000 8005C7F2
	v_mfma_f32_16x16x32_fp8_fp8 v[88:91], a[28:29], a[140:141], v[88:91]// 0000000038EC: D3F30058 1D63191C
	v_mfma_f32_16x16x32_fp8_fp8 v[88:91], a[30:31], a[142:143], v[88:91]// 0000000038F4: D3F30058 1D631D1E
	v_pk_fma_f32 v[148:149], v[4:5], v[84:85], v[148:149]      // 0000000038FC: D3B04094 1E52A904
	v_pk_fma_f32 v[150:151], v[4:5], v[86:87], v[150:151]      // 000000003904: D3B04096 1E5AAD04
	v_pk_fma_f32 v[152:153], v[4:5], v[88:89], v[152:153]      // 00000000390C: D3B04098 1E62B104
	v_pk_fma_f32 v[154:155], v[4:5], v[90:91], v[154:155]      // 000000003914: D3B0409A 1E6AB504
	v_mfma_f32_16x16x32_fp8_fp8 v[92:95], a[16:17], a[144:145], 0// 00000000391C: D3F3005C 1A032110
	s_add_u32 m0, 0x800, s59                                   // 000000003924: 807C3BFF 00000800
	buffer_load_dword v50, s[4:7], 0 offen lds                 // 00000000392C: E0511000 80010032
	v_mfma_f32_16x16x32_fp8_fp8 v[92:95], a[18:19], a[146:147], v[92:95]// 000000003934: D3F3005C 1D732512
	ds_read_b128 a[80:83], v58 offset:35072                    // 00000000393C: DBFE8900 5000003A
	v_mfma_f32_16x16x32_fp8_fp8 v[92:95], a[20:21], a[148:149], v[92:95]// 000000003944: D3F3005C 1D732914
	s_add_u32 m0, 0x900, s59                                   // 00000000394C: 807C3BFF 00000900
	buffer_load_dword v51, s[4:7], 0 offen lds                 // 000000003954: E0511000 80010033
	v_mfma_f32_16x16x32_fp8_fp8 v[92:95], a[22:23], a[150:151], v[92:95]// 00000000395C: D3F3005C 1D732D16
	ds_read_b128 a[84:87], v58 offset:35136                    // 000000003964: DBFE8940 5400003A
	v_mul_f32_e32 v4, v237, v200                               // 00000000396C: 0A0991ED
	v_mov_b32_e32 v5, v4                                       // 000000003970: 7E0A0304
	v_mfma_f32_16x16x32_fp8_fp8 v[96:99], a[24:25], a[144:145], 0// 000000003974: D3F30060 1A032118
	v_mfma_f32_16x16x32_fp8_fp8 v[96:99], a[26:27], a[146:147], v[96:99]// 00000000397C: D3F30060 1D83251A
	buffer_load_dword v200, v243, s[20:23], 0 offen            // 000000003984: E0501000 8005C8F3
	v_mfma_f32_16x16x32_fp8_fp8 v[96:99], a[28:29], a[148:149], v[96:99]// 00000000398C: D3F30060 1D83291C
	v_mfma_f32_16x16x32_fp8_fp8 v[96:99], a[30:31], a[150:151], v[96:99]// 000000003994: D3F30060 1D832D1E
	v_pk_fma_f32 v[156:157], v[4:5], v[92:93], v[156:157]      // 00000000399C: D3B0409C 1E72B904
	v_pk_fma_f32 v[158:159], v[4:5], v[94:95], v[158:159]      // 0000000039A4: D3B0409E 1E7ABD04
	v_pk_fma_f32 v[160:161], v[4:5], v[96:97], v[160:161]      // 0000000039AC: D3B040A0 1E82C104
	v_pk_fma_f32 v[162:163], v[4:5], v[98:99], v[162:163]      // 0000000039B4: D3B040A2 1E8AC504
	v_mfma_f32_16x16x32_fp8_fp8 v[100:103], a[16:17], a[152:153], 0// 0000000039BC: D3F30064 1A033110
	s_add_u32 m0, 0xa00, s59                                   // 0000000039C4: 807C3BFF 00000A00
	buffer_load_dword v52, s[4:7], 0 offen lds                 // 0000000039CC: E0511000 80010034
	v_mfma_f32_16x16x32_fp8_fp8 v[100:103], a[18:19], a[154:155], v[100:103]// 0000000039D4: D3F30064 1D933512
	ds_read_b128 a[88:91], v58 offset:35584                    // 0000000039DC: DBFE8B00 5800003A
	v_mfma_f32_16x16x32_fp8_fp8 v[100:103], a[20:21], a[156:157], v[100:103]// 0000000039E4: D3F30064 1D933914
	s_add_u32 m0, 0xb00, s59                                   // 0000000039EC: 807C3BFF 00000B00
	buffer_load_dword v53, s[4:7], 0 offen lds                 // 0000000039F4: E0511000 80010035
	v_mfma_f32_16x16x32_fp8_fp8 v[100:103], a[22:23], a[158:159], v[100:103]// 0000000039FC: D3F30064 1D933D16
	ds_read_b128 a[92:95], v58 offset:35648                    // 000000003A04: DBFE8B40 5C00003A
	v_mul_f32_e32 v4, v237, v201                               // 000000003A0C: 0A0993ED
	v_mov_b32_e32 v5, v4                                       // 000000003A10: 7E0A0304
	v_mfma_f32_16x16x32_fp8_fp8 v[104:107], a[24:25], a[152:153], 0// 000000003A14: D3F30068 1A033118
	v_mfma_f32_16x16x32_fp8_fp8 v[104:107], a[26:27], a[154:155], v[104:107]// 000000003A1C: D3F30068 1DA3351A
	buffer_load_dword v201, v244, s[20:23], 0 offen            // 000000003A24: E0501000 8005C9F4
	v_mfma_f32_16x16x32_fp8_fp8 v[104:107], a[28:29], a[156:157], v[104:107]// 000000003A2C: D3F30068 1DA3391C
	v_mfma_f32_16x16x32_fp8_fp8 v[104:107], a[30:31], a[158:159], v[104:107]// 000000003A34: D3F30068 1DA33D1E
	v_pk_fma_f32 v[164:165], v[4:5], v[100:101], v[164:165]    // 000000003A3C: D3B040A4 1E92C904
	v_pk_fma_f32 v[166:167], v[4:5], v[102:103], v[166:167]    // 000000003A44: D3B040A6 1E9ACD04
	v_pk_fma_f32 v[168:169], v[4:5], v[104:105], v[168:169]    // 000000003A4C: D3B040A8 1EA2D104
	v_pk_fma_f32 v[170:171], v[4:5], v[106:107], v[170:171]    // 000000003A54: D3B040AA 1EAAD504
	v_mfma_f32_16x16x32_fp8_fp8 v[108:111], a[16:17], a[160:161], 0// 000000003A5C: D3F3006C 1A034110
	s_add_u32 m0, 0xc00, s59                                   // 000000003A64: 807C3BFF 00000C00
	buffer_load_dword v54, s[4:7], 0 offen lds                 // 000000003A6C: E0511000 80010036
	v_mfma_f32_16x16x32_fp8_fp8 v[108:111], a[18:19], a[162:163], v[108:111]// 000000003A74: D3F3006C 1DB34512
	ds_read_b128 a[96:99], v58 offset:36096                    // 000000003A7C: DBFE8D00 6000003A
	v_mfma_f32_16x16x32_fp8_fp8 v[108:111], a[20:21], a[164:165], v[108:111]// 000000003A84: D3F3006C 1DB34914
	s_add_u32 m0, 0xd00, s59                                   // 000000003A8C: 807C3BFF 00000D00
	buffer_load_dword v55, s[4:7], 0 offen lds                 // 000000003A94: E0511000 80010037
	v_mfma_f32_16x16x32_fp8_fp8 v[108:111], a[22:23], a[166:167], v[108:111]// 000000003A9C: D3F3006C 1DB34D16
	ds_read_b128 a[100:103], v58 offset:36160                  // 000000003AA4: DBFE8D40 6400003A
	v_mul_f32_e32 v4, v237, v202                               // 000000003AAC: 0A0995ED
	v_mov_b32_e32 v5, v4                                       // 000000003AB0: 7E0A0304
	v_mfma_f32_16x16x32_fp8_fp8 v[112:115], a[24:25], a[160:161], 0// 000000003AB4: D3F30070 1A034118
	v_mfma_f32_16x16x32_fp8_fp8 v[112:115], a[26:27], a[162:163], v[112:115]// 000000003ABC: D3F30070 1DC3451A
	buffer_load_dword v202, v245, s[20:23], 0 offen            // 000000003AC4: E0501000 8005CAF5
	v_mfma_f32_16x16x32_fp8_fp8 v[112:115], a[28:29], a[164:165], v[112:115]// 000000003ACC: D3F30070 1DC3491C
	v_mfma_f32_16x16x32_fp8_fp8 v[112:115], a[30:31], a[166:167], v[112:115]// 000000003AD4: D3F30070 1DC34D1E
	v_pk_fma_f32 v[172:173], v[4:5], v[108:109], v[172:173]    // 000000003ADC: D3B040AC 1EB2D904
	v_pk_fma_f32 v[174:175], v[4:5], v[110:111], v[174:175]    // 000000003AE4: D3B040AE 1EBADD04
	v_pk_fma_f32 v[176:177], v[4:5], v[112:113], v[176:177]    // 000000003AEC: D3B040B0 1EC2E104
	v_pk_fma_f32 v[178:179], v[4:5], v[114:115], v[178:179]    // 000000003AF4: D3B040B2 1ECAE504
	v_mfma_f32_16x16x32_fp8_fp8 v[116:119], a[16:17], a[168:169], 0// 000000003AFC: D3F30074 1A035110
	s_add_u32 m0, 0xe00, s59                                   // 000000003B04: 807C3BFF 00000E00
	buffer_load_dword v56, s[4:7], 0 offen lds                 // 000000003B0C: E0511000 80010038
	v_mfma_f32_16x16x32_fp8_fp8 v[116:119], a[18:19], a[170:171], v[116:119]// 000000003B14: D3F30074 1DD35512
	ds_read_b128 a[104:107], v58 offset:36608                  // 000000003B1C: DBFE8F00 6800003A
	v_mfma_f32_16x16x32_fp8_fp8 v[116:119], a[20:21], a[172:173], v[116:119]// 000000003B24: D3F30074 1DD35914
	s_add_u32 m0, 0xf00, s59                                   // 000000003B2C: 807C3BFF 00000F00
	buffer_load_dword v57, s[4:7], 0 offen lds                 // 000000003B34: E0511000 80010039
	v_mfma_f32_16x16x32_fp8_fp8 v[116:119], a[22:23], a[174:175], v[116:119]// 000000003B3C: D3F30074 1DD35D16
	ds_read_b128 a[108:111], v58 offset:36672                  // 000000003B44: DBFE8F40 6C00003A
	v_mul_f32_e32 v4, v237, v203                               // 000000003B4C: 0A0997ED
	v_mov_b32_e32 v5, v4                                       // 000000003B50: 7E0A0304
	v_mfma_f32_16x16x32_fp8_fp8 v[120:123], a[24:25], a[168:169], 0// 000000003B54: D3F30078 1A035118
	v_mfma_f32_16x16x32_fp8_fp8 v[120:123], a[26:27], a[170:171], v[120:123]// 000000003B5C: D3F30078 1DE3551A
	buffer_load_dword v203, v246, s[20:23], 0 offen            // 000000003B64: E0501000 8005CBF6
	s_add_u32 s50, 0x200, s42                                  // 000000003B6C: 80322AFF 00000200
	s_cmp_lt_u32 s50, s43                                      // 000000003B74: BF0A2B32
	s_cselect_b32 s54, s54, 0                                  // 000000003B78: 85368036
	s_add_u32 s50, 0x180, s42                                  // 000000003B7C: 80322AFF 00000180
	s_cmp_lt_u32 s50, s43                                      // 000000003B84: BF0A2B32
	s_cselect_b32 s55, s55, 0                                  // 000000003B88: 85378037
	s_add_u32 s50, 0x200, s42                                  // 000000003B8C: 80322AFF 00000200
	s_cmp_lt_u32 s50, s43                                      // 000000003B94: BF0A2B32
	s_cselect_b32 s56, s56, 0                                  // 000000003B98: 85388038
	s_add_u32 s50, 0x180, s42                                  // 000000003B9C: 80322AFF 00000180
	s_cmp_lt_u32 s50, s43                                      // 000000003BA4: BF0A2B32
	s_cselect_b32 s57, s57, 0                                  // 000000003BA8: 85398039
	v_mfma_f32_16x16x32_fp8_fp8 v[120:123], a[28:29], a[172:173], v[120:123]// 000000003BAC: D3F30078 1DE3591C
	v_mfma_f32_16x16x32_fp8_fp8 v[120:123], a[30:31], a[174:175], v[120:123]// 000000003BB4: D3F30078 1DE35D1E
	buffer_load_dword v236, v255, s[24:27], 0 offen            // 000000003BBC: E0501000 8006ECFF
	s_add_u32 s4, s54, s4                                      // 000000003BC4: 80040436
	s_addc_u32 s5, 0, s5                                       // 000000003BC8: 82050580
	s_sub_u32 s6, s6, s54                                      // 000000003BCC: 80863606
	s_add_u32 s8, s55, s8                                      // 000000003BD0: 80080837
	s_addc_u32 s9, 0, s9                                       // 000000003BD4: 82090980
	s_sub_u32 s10, s10, s55                                    // 000000003BD8: 808A370A
	s_add_u32 s20, s56, s20                                    // 000000003BDC: 80141438
	s_addc_u32 s21, 0, s21                                     // 000000003BE0: 82151580
	s_add_u32 s24, s57, s24                                    // 000000003BE4: 80181839
	s_addc_u32 s25, 0, s25                                     // 000000003BE8: 82191980
	s_sub_u32 s26, s26, s57                                    // 000000003BEC: 809A391A
	v_pk_fma_f32 v[180:181], v[4:5], v[116:117], v[180:181]    // 000000003BF0: D3B040B4 1ED2E904
	v_pk_fma_f32 v[182:183], v[4:5], v[118:119], v[182:183]    // 000000003BF8: D3B040B6 1EDAED04
	v_pk_fma_f32 v[184:185], v[4:5], v[120:121], v[184:185]    // 000000003C00: D3B040B8 1EE2F104
	v_pk_fma_f32 v[186:187], v[4:5], v[122:123], v[186:187]    // 000000003C08: D3B040BA 1EEAF504
	s_addk_i32 s42, 0x80                                       // 000000003C10: B72A0080
	s_cmp_lt_i32 s42, s43                                      // 000000003C14: BF042B2A
	s_cbranch_scc0 label_0BEC                                  // 000000003C18: BF8405A5
	s_waitcnt vmcnt(28) lgkmcnt(0)                             // 000000003C1C: BF8C407C
	s_barrier                                                  // 000000003C20: BF8A0000
	v_mfma_f32_16x16x32_fp8_fp8 v[60:63], a[32:33], a[48:49], 0// 000000003C24: D3F3003C 1A026120
	s_add_u32 m0, 0, s60                                       // 000000003C2C: 807C3C80
	buffer_load_dword v42, s[4:7], 0 offen lds                 // 000000003C30: E0511000 8001002A
	v_mfma_f32_16x16x32_fp8_fp8 v[60:63], a[34:35], a[50:51], v[60:63]// 000000003C38: D3F3003C 1CF26522
	ds_read_b128 a[112:115], v58                               // 000000003C40: DBFE0000 7000003A
	v_mfma_f32_16x16x32_fp8_fp8 v[60:63], a[36:37], a[52:53], v[60:63]// 000000003C48: D3F3003C 1CF26924
	s_add_u32 m0, 0x100, s60                                   // 000000003C50: 807C3CFF 00000100
	buffer_load_dword v43, s[4:7], 0 offen lds                 // 000000003C58: E0511000 8001002B
	v_mfma_f32_16x16x32_fp8_fp8 v[60:63], a[38:39], a[54:55], v[60:63]// 000000003C60: D3F3003C 1CF26D26
	ds_read_b128 a[116:119], v58 offset:64                     // 000000003C68: DBFE0040 7400003A
	v_mul_f32_e32 v4, v238, v204                               // 000000003C70: 0A0999EE
	v_mov_b32_e32 v5, v4                                       // 000000003C74: 7E0A0304
	v_mfma_f32_16x16x32_fp8_fp8 v[64:67], a[40:41], a[48:49], 0// 000000003C78: D3F30040 1A026128
	buffer_load_dwordx4 a[16:19], v38, s[8:11], 0 offen        // 000000003C80: E05C1000 80821026
	v_mfma_f32_16x16x32_fp8_fp8 v[64:67], a[42:43], a[50:51], v[64:67]// 000000003C88: D3F30040 1D02652A
	buffer_load_dword v204, v239, s[20:23], 0 offen            // 000000003C90: E0501000 8005CCEF
	v_mfma_f32_16x16x32_fp8_fp8 v[64:67], a[44:45], a[52:53], v[64:67]// 000000003C98: D3F30040 1D02692C
	buffer_load_dwordx4 a[20:23], v39, s[8:11], 0 offen        // 000000003CA0: E05C1000 80821427
	v_mfma_f32_16x16x32_fp8_fp8 v[64:67], a[46:47], a[54:55], v[64:67]// 000000003CA8: D3F30040 1D026D2E
	v_pk_fma_f32 v[124:125], v[4:5], v[60:61], v[124:125]      // 000000003CB0: D3B0407C 1DF27904
	v_pk_fma_f32 v[126:127], v[4:5], v[62:63], v[126:127]      // 000000003CB8: D3B0407E 1DFA7D04
	v_pk_fma_f32 v[128:129], v[4:5], v[64:65], v[128:129]      // 000000003CC0: D3B04080 1E028104
	v_pk_fma_f32 v[130:131], v[4:5], v[66:67], v[130:131]      // 000000003CC8: D3B04082 1E0A8504
	v_mfma_f32_16x16x32_fp8_fp8 v[68:71], a[32:33], a[56:57], 0// 000000003CD0: D3F30044 1A027120
	s_add_u32 m0, 0x200, s60                                   // 000000003CD8: 807C3CFF 00000200
	buffer_load_dword v44, s[4:7], 0 offen lds                 // 000000003CE0: E0511000 8001002C
	v_mfma_f32_16x16x32_fp8_fp8 v[68:71], a[34:35], a[58:59], v[68:71]// 000000003CE8: D3F30044 1D127522
	ds_read_b128 a[120:123], v58 offset:512                    // 000000003CF0: DBFE0200 7800003A
	v_mfma_f32_16x16x32_fp8_fp8 v[68:71], a[36:37], a[60:61], v[68:71]// 000000003CF8: D3F30044 1D127924
	s_add_u32 m0, 0x300, s60                                   // 000000003D00: 807C3CFF 00000300
	buffer_load_dword v45, s[4:7], 0 offen lds                 // 000000003D08: E0511000 8001002D
	v_mfma_f32_16x16x32_fp8_fp8 v[68:71], a[38:39], a[62:63], v[68:71]// 000000003D10: D3F30044 1D127D26
	ds_read_b128 a[124:127], v58 offset:576                    // 000000003D18: DBFE0240 7C00003A
	v_mul_f32_e32 v4, v238, v205                               // 000000003D20: 0A099BEE
	v_mov_b32_e32 v5, v4                                       // 000000003D24: 7E0A0304
	v_mfma_f32_16x16x32_fp8_fp8 v[72:75], a[40:41], a[56:57], 0// 000000003D28: D3F30048 1A027128
	buffer_load_dwordx4 a[24:27], v40, s[8:11], 0 offen        // 000000003D30: E05C1000 80821828
	v_mfma_f32_16x16x32_fp8_fp8 v[72:75], a[42:43], a[58:59], v[72:75]// 000000003D38: D3F30048 1D22752A
	buffer_load_dword v205, v240, s[20:23], 0 offen            // 000000003D40: E0501000 8005CDF0
	v_mfma_f32_16x16x32_fp8_fp8 v[72:75], a[44:45], a[60:61], v[72:75]// 000000003D48: D3F30048 1D22792C
	buffer_load_dwordx4 a[28:31], v41, s[8:11], 0 offen        // 000000003D50: E05C1000 80821C29
	v_mfma_f32_16x16x32_fp8_fp8 v[72:75], a[46:47], a[62:63], v[72:75]// 000000003D58: D3F30048 1D227D2E
	v_pk_fma_f32 v[132:133], v[4:5], v[68:69], v[132:133]      // 000000003D60: D3B04084 1E128904
	v_pk_fma_f32 v[134:135], v[4:5], v[70:71], v[134:135]      // 000000003D68: D3B04086 1E1A8D04
	v_pk_fma_f32 v[136:137], v[4:5], v[72:73], v[136:137]      // 000000003D70: D3B04088 1E229104
	v_pk_fma_f32 v[138:139], v[4:5], v[74:75], v[138:139]      // 000000003D78: D3B0408A 1E2A9504
	v_mfma_f32_16x16x32_fp8_fp8 v[76:79], a[32:33], a[64:65], 0// 000000003D80: D3F3004C 1A028120
	s_add_u32 m0, 0x400, s60                                   // 000000003D88: 807C3CFF 00000400
	buffer_load_dword v46, s[4:7], 0 offen lds                 // 000000003D90: E0511000 8001002E
	v_mfma_f32_16x16x32_fp8_fp8 v[76:79], a[34:35], a[66:67], v[76:79]// 000000003D98: D3F3004C 1D328522
	ds_read_b128 a[128:131], v58 offset:1024                   // 000000003DA0: DBFE0400 8000003A
	v_mfma_f32_16x16x32_fp8_fp8 v[76:79], a[36:37], a[68:69], v[76:79]// 000000003DA8: D3F3004C 1D328924
	s_add_u32 m0, 0x500, s60                                   // 000000003DB0: 807C3CFF 00000500
	buffer_load_dword v47, s[4:7], 0 offen lds                 // 000000003DB8: E0511000 8001002F
	v_mfma_f32_16x16x32_fp8_fp8 v[76:79], a[38:39], a[70:71], v[76:79]// 000000003DC0: D3F3004C 1D328D26
	ds_read_b128 a[132:135], v58 offset:1088                   // 000000003DC8: DBFE0440 8400003A
	v_mul_f32_e32 v4, v238, v206                               // 000000003DD0: 0A099DEE
	v_mov_b32_e32 v5, v4                                       // 000000003DD4: 7E0A0304
	v_mfma_f32_16x16x32_fp8_fp8 v[80:83], a[40:41], a[64:65], 0// 000000003DD8: D3F30050 1A028128
	v_mfma_f32_16x16x32_fp8_fp8 v[80:83], a[42:43], a[66:67], v[80:83]// 000000003DE0: D3F30050 1D42852A
	buffer_load_dword v206, v241, s[20:23], 0 offen            // 000000003DE8: E0501000 8005CEF1
	v_mfma_f32_16x16x32_fp8_fp8 v[80:83], a[44:45], a[68:69], v[80:83]// 000000003DF0: D3F30050 1D42892C
	v_mfma_f32_16x16x32_fp8_fp8 v[80:83], a[46:47], a[70:71], v[80:83]// 000000003DF8: D3F30050 1D428D2E
	v_pk_fma_f32 v[140:141], v[4:5], v[76:77], v[140:141]      // 000000003E00: D3B0408C 1E329904
	v_pk_fma_f32 v[142:143], v[4:5], v[78:79], v[142:143]      // 000000003E08: D3B0408E 1E3A9D04
	v_pk_fma_f32 v[144:145], v[4:5], v[80:81], v[144:145]      // 000000003E10: D3B04090 1E42A104
	v_pk_fma_f32 v[146:147], v[4:5], v[82:83], v[146:147]      // 000000003E18: D3B04092 1E4AA504
	v_mfma_f32_16x16x32_fp8_fp8 v[84:87], a[32:33], a[72:73], 0// 000000003E20: D3F30054 1A029120
	s_add_u32 m0, 0x600, s60                                   // 000000003E28: 807C3CFF 00000600
	buffer_load_dword v48, s[4:7], 0 offen lds                 // 000000003E30: E0511000 80010030
	v_mfma_f32_16x16x32_fp8_fp8 v[84:87], a[34:35], a[74:75], v[84:87]// 000000003E38: D3F30054 1D529522
	ds_read_b128 a[136:139], v58 offset:1536                   // 000000003E40: DBFE0600 8800003A
	v_mfma_f32_16x16x32_fp8_fp8 v[84:87], a[36:37], a[76:77], v[84:87]// 000000003E48: D3F30054 1D529924
	s_add_u32 m0, 0x700, s60                                   // 000000003E50: 807C3CFF 00000700
	buffer_load_dword v49, s[4:7], 0 offen lds                 // 000000003E58: E0511000 80010031
	v_mfma_f32_16x16x32_fp8_fp8 v[84:87], a[38:39], a[78:79], v[84:87]// 000000003E60: D3F30054 1D529D26
	ds_read_b128 a[140:143], v58 offset:1600                   // 000000003E68: DBFE0640 8C00003A
	v_mul_f32_e32 v4, v238, v207                               // 000000003E70: 0A099FEE
	v_mov_b32_e32 v5, v4                                       // 000000003E74: 7E0A0304
	v_mfma_f32_16x16x32_fp8_fp8 v[88:91], a[40:41], a[72:73], 0// 000000003E78: D3F30058 1A029128
	v_mfma_f32_16x16x32_fp8_fp8 v[88:91], a[42:43], a[74:75], v[88:91]// 000000003E80: D3F30058 1D62952A
	buffer_load_dword v207, v242, s[20:23], 0 offen            // 000000003E88: E0501000 8005CFF2
	v_mfma_f32_16x16x32_fp8_fp8 v[88:91], a[44:45], a[76:77], v[88:91]// 000000003E90: D3F30058 1D62992C
	v_mfma_f32_16x16x32_fp8_fp8 v[88:91], a[46:47], a[78:79], v[88:91]// 000000003E98: D3F30058 1D629D2E
	v_pk_fma_f32 v[148:149], v[4:5], v[84:85], v[148:149]      // 000000003EA0: D3B04094 1E52A904
	v_pk_fma_f32 v[150:151], v[4:5], v[86:87], v[150:151]      // 000000003EA8: D3B04096 1E5AAD04
	v_pk_fma_f32 v[152:153], v[4:5], v[88:89], v[152:153]      // 000000003EB0: D3B04098 1E62B104
	v_pk_fma_f32 v[154:155], v[4:5], v[90:91], v[154:155]      // 000000003EB8: D3B0409A 1E6AB504
	v_mfma_f32_16x16x32_fp8_fp8 v[92:95], a[32:33], a[80:81], 0// 000000003EC0: D3F3005C 1A02A120
	s_add_u32 m0, 0x800, s60                                   // 000000003EC8: 807C3CFF 00000800
	buffer_load_dword v50, s[4:7], 0 offen lds                 // 000000003ED0: E0511000 80010032
	v_mfma_f32_16x16x32_fp8_fp8 v[92:95], a[34:35], a[82:83], v[92:95]// 000000003ED8: D3F3005C 1D72A522
	ds_read_b128 a[144:147], v58 offset:2048                   // 000000003EE0: DBFE0800 9000003A
	v_mfma_f32_16x16x32_fp8_fp8 v[92:95], a[36:37], a[84:85], v[92:95]// 000000003EE8: D3F3005C 1D72A924
	s_add_u32 m0, 0x900, s60                                   // 000000003EF0: 807C3CFF 00000900
	buffer_load_dword v51, s[4:7], 0 offen lds                 // 000000003EF8: E0511000 80010033
	v_mfma_f32_16x16x32_fp8_fp8 v[92:95], a[38:39], a[86:87], v[92:95]// 000000003F00: D3F3005C 1D72AD26
	ds_read_b128 a[148:151], v58 offset:2112                   // 000000003F08: DBFE0840 9400003A
	v_mul_f32_e32 v4, v238, v208                               // 000000003F10: 0A09A1EE
	v_mov_b32_e32 v5, v4                                       // 000000003F14: 7E0A0304
	v_mfma_f32_16x16x32_fp8_fp8 v[96:99], a[40:41], a[80:81], 0// 000000003F18: D3F30060 1A02A128
	v_mfma_f32_16x16x32_fp8_fp8 v[96:99], a[42:43], a[82:83], v[96:99]// 000000003F20: D3F30060 1D82A52A
	buffer_load_dword v208, v243, s[20:23], 0 offen            // 000000003F28: E0501000 8005D0F3
	v_mfma_f32_16x16x32_fp8_fp8 v[96:99], a[44:45], a[84:85], v[96:99]// 000000003F30: D3F30060 1D82A92C
	v_mfma_f32_16x16x32_fp8_fp8 v[96:99], a[46:47], a[86:87], v[96:99]// 000000003F38: D3F30060 1D82AD2E
	v_pk_fma_f32 v[156:157], v[4:5], v[92:93], v[156:157]      // 000000003F40: D3B0409C 1E72B904
	v_pk_fma_f32 v[158:159], v[4:5], v[94:95], v[158:159]      // 000000003F48: D3B0409E 1E7ABD04
	v_pk_fma_f32 v[160:161], v[4:5], v[96:97], v[160:161]      // 000000003F50: D3B040A0 1E82C104
	v_pk_fma_f32 v[162:163], v[4:5], v[98:99], v[162:163]      // 000000003F58: D3B040A2 1E8AC504
	v_mfma_f32_16x16x32_fp8_fp8 v[100:103], a[32:33], a[88:89], 0// 000000003F60: D3F30064 1A02B120
	s_add_u32 m0, 0xa00, s60                                   // 000000003F68: 807C3CFF 00000A00
	buffer_load_dword v52, s[4:7], 0 offen lds                 // 000000003F70: E0511000 80010034
	v_mfma_f32_16x16x32_fp8_fp8 v[100:103], a[34:35], a[90:91], v[100:103]// 000000003F78: D3F30064 1D92B522
	ds_read_b128 a[152:155], v58 offset:2560                   // 000000003F80: DBFE0A00 9800003A
	v_mfma_f32_16x16x32_fp8_fp8 v[100:103], a[36:37], a[92:93], v[100:103]// 000000003F88: D3F30064 1D92B924
	s_add_u32 m0, 0xb00, s60                                   // 000000003F90: 807C3CFF 00000B00
	buffer_load_dword v53, s[4:7], 0 offen lds                 // 000000003F98: E0511000 80010035
	v_mfma_f32_16x16x32_fp8_fp8 v[100:103], a[38:39], a[94:95], v[100:103]// 000000003FA0: D3F30064 1D92BD26
	ds_read_b128 a[156:159], v58 offset:2624                   // 000000003FA8: DBFE0A40 9C00003A
	v_mul_f32_e32 v4, v238, v209                               // 000000003FB0: 0A09A3EE
	v_mov_b32_e32 v5, v4                                       // 000000003FB4: 7E0A0304
	v_mfma_f32_16x16x32_fp8_fp8 v[104:107], a[40:41], a[88:89], 0// 000000003FB8: D3F30068 1A02B128
	v_mfma_f32_16x16x32_fp8_fp8 v[104:107], a[42:43], a[90:91], v[104:107]// 000000003FC0: D3F30068 1DA2B52A
	buffer_load_dword v209, v244, s[20:23], 0 offen            // 000000003FC8: E0501000 8005D1F4
	v_mfma_f32_16x16x32_fp8_fp8 v[104:107], a[44:45], a[92:93], v[104:107]// 000000003FD0: D3F30068 1DA2B92C
	v_mfma_f32_16x16x32_fp8_fp8 v[104:107], a[46:47], a[94:95], v[104:107]// 000000003FD8: D3F30068 1DA2BD2E
	v_pk_fma_f32 v[164:165], v[4:5], v[100:101], v[164:165]    // 000000003FE0: D3B040A4 1E92C904
	v_pk_fma_f32 v[166:167], v[4:5], v[102:103], v[166:167]    // 000000003FE8: D3B040A6 1E9ACD04
	v_pk_fma_f32 v[168:169], v[4:5], v[104:105], v[168:169]    // 000000003FF0: D3B040A8 1EA2D104
	v_pk_fma_f32 v[170:171], v[4:5], v[106:107], v[170:171]    // 000000003FF8: D3B040AA 1EAAD504
	v_mfma_f32_16x16x32_fp8_fp8 v[108:111], a[32:33], a[96:97], 0// 000000004000: D3F3006C 1A02C120
	s_add_u32 m0, 0xc00, s60                                   // 000000004008: 807C3CFF 00000C00
	buffer_load_dword v54, s[4:7], 0 offen lds                 // 000000004010: E0511000 80010036
	v_mfma_f32_16x16x32_fp8_fp8 v[108:111], a[34:35], a[98:99], v[108:111]// 000000004018: D3F3006C 1DB2C522
	ds_read_b128 a[160:163], v58 offset:3072                   // 000000004020: DBFE0C00 A000003A
	v_mfma_f32_16x16x32_fp8_fp8 v[108:111], a[36:37], a[100:101], v[108:111]// 000000004028: D3F3006C 1DB2C924
	s_add_u32 m0, 0xd00, s60                                   // 000000004030: 807C3CFF 00000D00
	buffer_load_dword v55, s[4:7], 0 offen lds                 // 000000004038: E0511000 80010037
	v_mfma_f32_16x16x32_fp8_fp8 v[108:111], a[38:39], a[102:103], v[108:111]// 000000004040: D3F3006C 1DB2CD26
	ds_read_b128 a[164:167], v58 offset:3136                   // 000000004048: DBFE0C40 A400003A
	v_mul_f32_e32 v4, v238, v210                               // 000000004050: 0A09A5EE
	v_mov_b32_e32 v5, v4                                       // 000000004054: 7E0A0304
	v_mfma_f32_16x16x32_fp8_fp8 v[112:115], a[40:41], a[96:97], 0// 000000004058: D3F30070 1A02C128
	v_mfma_f32_16x16x32_fp8_fp8 v[112:115], a[42:43], a[98:99], v[112:115]// 000000004060: D3F30070 1DC2C52A
	buffer_load_dword v210, v245, s[20:23], 0 offen            // 000000004068: E0501000 8005D2F5
	v_mfma_f32_16x16x32_fp8_fp8 v[112:115], a[44:45], a[100:101], v[112:115]// 000000004070: D3F30070 1DC2C92C
	v_mfma_f32_16x16x32_fp8_fp8 v[112:115], a[46:47], a[102:103], v[112:115]// 000000004078: D3F30070 1DC2CD2E
	v_pk_fma_f32 v[172:173], v[4:5], v[108:109], v[172:173]    // 000000004080: D3B040AC 1EB2D904
	v_pk_fma_f32 v[174:175], v[4:5], v[110:111], v[174:175]    // 000000004088: D3B040AE 1EBADD04
	v_pk_fma_f32 v[176:177], v[4:5], v[112:113], v[176:177]    // 000000004090: D3B040B0 1EC2E104
	v_pk_fma_f32 v[178:179], v[4:5], v[114:115], v[178:179]    // 000000004098: D3B040B2 1ECAE504
	v_mfma_f32_16x16x32_fp8_fp8 v[116:119], a[32:33], a[104:105], 0// 0000000040A0: D3F30074 1A02D120
	s_add_u32 m0, 0xe00, s60                                   // 0000000040A8: 807C3CFF 00000E00
	buffer_load_dword v56, s[4:7], 0 offen lds                 // 0000000040B0: E0511000 80010038
	v_mfma_f32_16x16x32_fp8_fp8 v[116:119], a[34:35], a[106:107], v[116:119]// 0000000040B8: D3F30074 1DD2D522
	ds_read_b128 a[168:171], v58 offset:3584                   // 0000000040C0: DBFE0E00 A800003A
	v_mfma_f32_16x16x32_fp8_fp8 v[116:119], a[36:37], a[108:109], v[116:119]// 0000000040C8: D3F30074 1DD2D924
	s_add_u32 m0, 0xf00, s60                                   // 0000000040D0: 807C3CFF 00000F00
	buffer_load_dword v57, s[4:7], 0 offen lds                 // 0000000040D8: E0511000 80010039
	v_mfma_f32_16x16x32_fp8_fp8 v[116:119], a[38:39], a[110:111], v[116:119]// 0000000040E0: D3F30074 1DD2DD26
	ds_read_b128 a[172:175], v58 offset:3648                   // 0000000040E8: DBFE0E40 AC00003A
	v_mul_f32_e32 v4, v238, v211                               // 0000000040F0: 0A09A7EE
	v_mov_b32_e32 v5, v4                                       // 0000000040F4: 7E0A0304
	v_mfma_f32_16x16x32_fp8_fp8 v[120:123], a[40:41], a[104:105], 0// 0000000040F8: D3F30078 1A02D128
	v_mfma_f32_16x16x32_fp8_fp8 v[120:123], a[42:43], a[106:107], v[120:123]// 000000004100: D3F30078 1DE2D52A
	buffer_load_dword v211, v246, s[20:23], 0 offen            // 000000004108: E0501000 8005D3F6
	s_add_u32 s50, 0x200, s42                                  // 000000004110: 80322AFF 00000200
	s_cmp_lt_u32 s50, s43                                      // 000000004118: BF0A2B32
	s_cselect_b32 s54, s54, 0                                  // 00000000411C: 85368036
	s_add_u32 s50, 0x180, s42                                  // 000000004120: 80322AFF 00000180
	s_cmp_lt_u32 s50, s43                                      // 000000004128: BF0A2B32
	s_cselect_b32 s55, s55, 0                                  // 00000000412C: 85378037
	s_add_u32 s50, 0x200, s42                                  // 000000004130: 80322AFF 00000200
	s_cmp_lt_u32 s50, s43                                      // 000000004138: BF0A2B32
	s_cselect_b32 s56, s56, 0                                  // 00000000413C: 85388038
	s_add_u32 s50, 0x180, s42                                  // 000000004140: 80322AFF 00000180
	s_cmp_lt_u32 s50, s43                                      // 000000004148: BF0A2B32
	s_cselect_b32 s57, s57, 0                                  // 00000000414C: 85398039
	v_mfma_f32_16x16x32_fp8_fp8 v[120:123], a[44:45], a[108:109], v[120:123]// 000000004150: D3F30078 1DE2D92C
	v_mfma_f32_16x16x32_fp8_fp8 v[120:123], a[46:47], a[110:111], v[120:123]// 000000004158: D3F30078 1DE2DD2E
	buffer_load_dword v237, v255, s[24:27], 0 offen            // 000000004160: E0501000 8006EDFF
	s_add_u32 s4, s54, s4                                      // 000000004168: 80040436
	s_addc_u32 s5, 0, s5                                       // 00000000416C: 82050580
	s_sub_u32 s6, s6, s54                                      // 000000004170: 80863606
	s_add_u32 s8, s55, s8                                      // 000000004174: 80080837
	s_addc_u32 s9, 0, s9                                       // 000000004178: 82090980
	s_sub_u32 s10, s10, s55                                    // 00000000417C: 808A370A
	s_add_u32 s20, s56, s20                                    // 000000004180: 80141438
	s_addc_u32 s21, 0, s21                                     // 000000004184: 82151580
	s_add_u32 s24, s57, s24                                    // 000000004188: 80181839
	s_addc_u32 s25, 0, s25                                     // 00000000418C: 82191980
	s_sub_u32 s26, s26, s57                                    // 000000004190: 809A391A
	v_pk_fma_f32 v[180:181], v[4:5], v[116:117], v[180:181]    // 000000004194: D3B040B4 1ED2E904
	v_pk_fma_f32 v[182:183], v[4:5], v[118:119], v[182:183]    // 00000000419C: D3B040B6 1EDAED04
	v_pk_fma_f32 v[184:185], v[4:5], v[120:121], v[184:185]    // 0000000041A4: D3B040B8 1EE2F104
	v_pk_fma_f32 v[186:187], v[4:5], v[122:123], v[186:187]    // 0000000041AC: D3B040BA 1EEAF504
	s_addk_i32 s42, 0x80                                       // 0000000041B4: B72A0080
	s_cmp_lt_i32 s42, s43                                      // 0000000041B8: BF042B2A
	s_cbranch_scc0 label_0BEC                                  // 0000000041BC: BF84043C
	s_waitcnt vmcnt(28) lgkmcnt(0)                             // 0000000041C0: BF8C407C
	s_barrier                                                  // 0000000041C4: BF8A0000
	v_mfma_f32_16x16x32_fp8_fp8 v[60:63], a[0:1], a[112:113], 0// 0000000041C8: D3F3003C 1A02E100
	s_add_u32 m0, 0, s58                                       // 0000000041D0: 807C3A80
	buffer_load_dword v42, s[4:7], 0 offen lds                 // 0000000041D4: E0511000 8001002A
	v_mfma_f32_16x16x32_fp8_fp8 v[60:63], a[2:3], a[114:115], v[60:63]// 0000000041DC: D3F3003C 1CF2E502
	ds_read_b128 a[48:51], v58 offset:16512                    // 0000000041E4: DBFE4080 3000003A
	v_mfma_f32_16x16x32_fp8_fp8 v[60:63], a[4:5], a[116:117], v[60:63]// 0000000041EC: D3F3003C 1CF2E904
	s_add_u32 m0, 0x100, s58                                   // 0000000041F4: 807C3AFF 00000100
	buffer_load_dword v43, s[4:7], 0 offen lds                 // 0000000041FC: E0511000 8001002B
	v_mfma_f32_16x16x32_fp8_fp8 v[60:63], a[6:7], a[118:119], v[60:63]// 000000004204: D3F3003C 1CF2ED06
	ds_read_b128 a[52:55], v58 offset:16576                    // 00000000420C: DBFE40C0 3400003A
	v_mul_f32_e32 v4, v236, v188                               // 000000004214: 0A0979EC
	v_mov_b32_e32 v5, v4                                       // 000000004218: 7E0A0304
	v_mfma_f32_16x16x32_fp8_fp8 v[64:67], a[8:9], a[112:113], 0// 00000000421C: D3F30040 1A02E108
	buffer_load_dwordx4 a[32:35], v38, s[8:11], 0 offen        // 000000004224: E05C1000 80822026
	v_mfma_f32_16x16x32_fp8_fp8 v[64:67], a[10:11], a[114:115], v[64:67]// 00000000422C: D3F30040 1D02E50A
	buffer_load_dword v188, v239, s[20:23], 0 offen            // 000000004234: E0501000 8005BCEF
	v_mfma_f32_16x16x32_fp8_fp8 v[64:67], a[12:13], a[116:117], v[64:67]// 00000000423C: D3F30040 1D02E90C
	buffer_load_dwordx4 a[36:39], v39, s[8:11], 0 offen        // 000000004244: E05C1000 80822427
	v_mfma_f32_16x16x32_fp8_fp8 v[64:67], a[14:15], a[118:119], v[64:67]// 00000000424C: D3F30040 1D02ED0E
	v_pk_fma_f32 v[124:125], v[4:5], v[60:61], v[124:125]      // 000000004254: D3B0407C 1DF27904
	v_pk_fma_f32 v[126:127], v[4:5], v[62:63], v[126:127]      // 00000000425C: D3B0407E 1DFA7D04
	v_pk_fma_f32 v[128:129], v[4:5], v[64:65], v[128:129]      // 000000004264: D3B04080 1E028104
	v_pk_fma_f32 v[130:131], v[4:5], v[66:67], v[130:131]      // 00000000426C: D3B04082 1E0A8504
	v_mfma_f32_16x16x32_fp8_fp8 v[68:71], a[0:1], a[120:121], 0// 000000004274: D3F30044 1A02F100
	s_add_u32 m0, 0x200, s58                                   // 00000000427C: 807C3AFF 00000200
	buffer_load_dword v44, s[4:7], 0 offen lds                 // 000000004284: E0511000 8001002C
	v_mfma_f32_16x16x32_fp8_fp8 v[68:71], a[2:3], a[122:123], v[68:71]// 00000000428C: D3F30044 1D12F502
	ds_read_b128 a[56:59], v58 offset:17024                    // 000000004294: DBFE4280 3800003A
	v_mfma_f32_16x16x32_fp8_fp8 v[68:71], a[4:5], a[124:125], v[68:71]// 00000000429C: D3F30044 1D12F904
	s_add_u32 m0, 0x300, s58                                   // 0000000042A4: 807C3AFF 00000300
	buffer_load_dword v45, s[4:7], 0 offen lds                 // 0000000042AC: E0511000 8001002D
	v_mfma_f32_16x16x32_fp8_fp8 v[68:71], a[6:7], a[126:127], v[68:71]// 0000000042B4: D3F30044 1D12FD06
	ds_read_b128 a[60:63], v58 offset:17088                    // 0000000042BC: DBFE42C0 3C00003A
	v_mul_f32_e32 v4, v236, v189                               // 0000000042C4: 0A097BEC
	v_mov_b32_e32 v5, v4                                       // 0000000042C8: 7E0A0304
	v_mfma_f32_16x16x32_fp8_fp8 v[72:75], a[8:9], a[120:121], 0// 0000000042CC: D3F30048 1A02F108
	buffer_load_dwordx4 a[40:43], v40, s[8:11], 0 offen        // 0000000042D4: E05C1000 80822828
	v_mfma_f32_16x16x32_fp8_fp8 v[72:75], a[10:11], a[122:123], v[72:75]// 0000000042DC: D3F30048 1D22F50A
	buffer_load_dword v189, v240, s[20:23], 0 offen            // 0000000042E4: E0501000 8005BDF0
	v_mfma_f32_16x16x32_fp8_fp8 v[72:75], a[12:13], a[124:125], v[72:75]// 0000000042EC: D3F30048 1D22F90C
	buffer_load_dwordx4 a[44:47], v41, s[8:11], 0 offen        // 0000000042F4: E05C1000 80822C29
	v_mfma_f32_16x16x32_fp8_fp8 v[72:75], a[14:15], a[126:127], v[72:75]// 0000000042FC: D3F30048 1D22FD0E
	v_pk_fma_f32 v[132:133], v[4:5], v[68:69], v[132:133]      // 000000004304: D3B04084 1E128904
	v_pk_fma_f32 v[134:135], v[4:5], v[70:71], v[134:135]      // 00000000430C: D3B04086 1E1A8D04
	v_pk_fma_f32 v[136:137], v[4:5], v[72:73], v[136:137]      // 000000004314: D3B04088 1E229104
	v_pk_fma_f32 v[138:139], v[4:5], v[74:75], v[138:139]      // 00000000431C: D3B0408A 1E2A9504
	v_mfma_f32_16x16x32_fp8_fp8 v[76:79], a[0:1], a[128:129], 0// 000000004324: D3F3004C 1A030100
	s_add_u32 m0, 0x400, s58                                   // 00000000432C: 807C3AFF 00000400
	buffer_load_dword v46, s[4:7], 0 offen lds                 // 000000004334: E0511000 8001002E
	v_mfma_f32_16x16x32_fp8_fp8 v[76:79], a[2:3], a[130:131], v[76:79]// 00000000433C: D3F3004C 1D330502
	ds_read_b128 a[64:67], v58 offset:17536                    // 000000004344: DBFE4480 4000003A
	v_mfma_f32_16x16x32_fp8_fp8 v[76:79], a[4:5], a[132:133], v[76:79]// 00000000434C: D3F3004C 1D330904
	s_add_u32 m0, 0x500, s58                                   // 000000004354: 807C3AFF 00000500
	buffer_load_dword v47, s[4:7], 0 offen lds                 // 00000000435C: E0511000 8001002F
	v_mfma_f32_16x16x32_fp8_fp8 v[76:79], a[6:7], a[134:135], v[76:79]// 000000004364: D3F3004C 1D330D06
	ds_read_b128 a[68:71], v58 offset:17600                    // 00000000436C: DBFE44C0 4400003A
	v_mul_f32_e32 v4, v236, v190                               // 000000004374: 0A097DEC
	v_mov_b32_e32 v5, v4                                       // 000000004378: 7E0A0304
	v_mfma_f32_16x16x32_fp8_fp8 v[80:83], a[8:9], a[128:129], 0// 00000000437C: D3F30050 1A030108
	v_mfma_f32_16x16x32_fp8_fp8 v[80:83], a[10:11], a[130:131], v[80:83]// 000000004384: D3F30050 1D43050A
	buffer_load_dword v190, v241, s[20:23], 0 offen            // 00000000438C: E0501000 8005BEF1
	v_mfma_f32_16x16x32_fp8_fp8 v[80:83], a[12:13], a[132:133], v[80:83]// 000000004394: D3F30050 1D43090C
	v_mfma_f32_16x16x32_fp8_fp8 v[80:83], a[14:15], a[134:135], v[80:83]// 00000000439C: D3F30050 1D430D0E
	v_pk_fma_f32 v[140:141], v[4:5], v[76:77], v[140:141]      // 0000000043A4: D3B0408C 1E329904
	v_pk_fma_f32 v[142:143], v[4:5], v[78:79], v[142:143]      // 0000000043AC: D3B0408E 1E3A9D04
	v_pk_fma_f32 v[144:145], v[4:5], v[80:81], v[144:145]      // 0000000043B4: D3B04090 1E42A104
	v_pk_fma_f32 v[146:147], v[4:5], v[82:83], v[146:147]      // 0000000043BC: D3B04092 1E4AA504
	v_mfma_f32_16x16x32_fp8_fp8 v[84:87], a[0:1], a[136:137], 0// 0000000043C4: D3F30054 1A031100
	s_add_u32 m0, 0x600, s58                                   // 0000000043CC: 807C3AFF 00000600
	buffer_load_dword v48, s[4:7], 0 offen lds                 // 0000000043D4: E0511000 80010030
	v_mfma_f32_16x16x32_fp8_fp8 v[84:87], a[2:3], a[138:139], v[84:87]// 0000000043DC: D3F30054 1D531502
	ds_read_b128 a[72:75], v58 offset:18048                    // 0000000043E4: DBFE4680 4800003A
	v_mfma_f32_16x16x32_fp8_fp8 v[84:87], a[4:5], a[140:141], v[84:87]// 0000000043EC: D3F30054 1D531904
	s_add_u32 m0, 0x700, s58                                   // 0000000043F4: 807C3AFF 00000700
	buffer_load_dword v49, s[4:7], 0 offen lds                 // 0000000043FC: E0511000 80010031
	v_mfma_f32_16x16x32_fp8_fp8 v[84:87], a[6:7], a[142:143], v[84:87]// 000000004404: D3F30054 1D531D06
	ds_read_b128 a[76:79], v58 offset:18112                    // 00000000440C: DBFE46C0 4C00003A
	v_mul_f32_e32 v4, v236, v191                               // 000000004414: 0A097FEC
	v_mov_b32_e32 v5, v4                                       // 000000004418: 7E0A0304
	v_mfma_f32_16x16x32_fp8_fp8 v[88:91], a[8:9], a[136:137], 0// 00000000441C: D3F30058 1A031108
	v_mfma_f32_16x16x32_fp8_fp8 v[88:91], a[10:11], a[138:139], v[88:91]// 000000004424: D3F30058 1D63150A
	buffer_load_dword v191, v242, s[20:23], 0 offen            // 00000000442C: E0501000 8005BFF2
	v_mfma_f32_16x16x32_fp8_fp8 v[88:91], a[12:13], a[140:141], v[88:91]// 000000004434: D3F30058 1D63190C
	v_mfma_f32_16x16x32_fp8_fp8 v[88:91], a[14:15], a[142:143], v[88:91]// 00000000443C: D3F30058 1D631D0E
	v_pk_fma_f32 v[148:149], v[4:5], v[84:85], v[148:149]      // 000000004444: D3B04094 1E52A904
	v_pk_fma_f32 v[150:151], v[4:5], v[86:87], v[150:151]      // 00000000444C: D3B04096 1E5AAD04
	v_pk_fma_f32 v[152:153], v[4:5], v[88:89], v[152:153]      // 000000004454: D3B04098 1E62B104
	v_pk_fma_f32 v[154:155], v[4:5], v[90:91], v[154:155]      // 00000000445C: D3B0409A 1E6AB504
	v_mfma_f32_16x16x32_fp8_fp8 v[92:95], a[0:1], a[144:145], 0// 000000004464: D3F3005C 1A032100
	s_add_u32 m0, 0x800, s58                                   // 00000000446C: 807C3AFF 00000800
	buffer_load_dword v50, s[4:7], 0 offen lds                 // 000000004474: E0511000 80010032
	v_mfma_f32_16x16x32_fp8_fp8 v[92:95], a[2:3], a[146:147], v[92:95]// 00000000447C: D3F3005C 1D732502
	ds_read_b128 a[80:83], v58 offset:18560                    // 000000004484: DBFE4880 5000003A
	v_mfma_f32_16x16x32_fp8_fp8 v[92:95], a[4:5], a[148:149], v[92:95]// 00000000448C: D3F3005C 1D732904
	s_add_u32 m0, 0x900, s58                                   // 000000004494: 807C3AFF 00000900
	buffer_load_dword v51, s[4:7], 0 offen lds                 // 00000000449C: E0511000 80010033
	v_mfma_f32_16x16x32_fp8_fp8 v[92:95], a[6:7], a[150:151], v[92:95]// 0000000044A4: D3F3005C 1D732D06
	ds_read_b128 a[84:87], v58 offset:18624                    // 0000000044AC: DBFE48C0 5400003A
	v_mul_f32_e32 v4, v236, v192                               // 0000000044B4: 0A0981EC
	v_mov_b32_e32 v5, v4                                       // 0000000044B8: 7E0A0304
	v_mfma_f32_16x16x32_fp8_fp8 v[96:99], a[8:9], a[144:145], 0// 0000000044BC: D3F30060 1A032108
	v_mfma_f32_16x16x32_fp8_fp8 v[96:99], a[10:11], a[146:147], v[96:99]// 0000000044C4: D3F30060 1D83250A
	buffer_load_dword v192, v243, s[20:23], 0 offen            // 0000000044CC: E0501000 8005C0F3
	v_mfma_f32_16x16x32_fp8_fp8 v[96:99], a[12:13], a[148:149], v[96:99]// 0000000044D4: D3F30060 1D83290C
	v_mfma_f32_16x16x32_fp8_fp8 v[96:99], a[14:15], a[150:151], v[96:99]// 0000000044DC: D3F30060 1D832D0E
	v_pk_fma_f32 v[156:157], v[4:5], v[92:93], v[156:157]      // 0000000044E4: D3B0409C 1E72B904
	v_pk_fma_f32 v[158:159], v[4:5], v[94:95], v[158:159]      // 0000000044EC: D3B0409E 1E7ABD04
	v_pk_fma_f32 v[160:161], v[4:5], v[96:97], v[160:161]      // 0000000044F4: D3B040A0 1E82C104
	v_pk_fma_f32 v[162:163], v[4:5], v[98:99], v[162:163]      // 0000000044FC: D3B040A2 1E8AC504
	v_mfma_f32_16x16x32_fp8_fp8 v[100:103], a[0:1], a[152:153], 0// 000000004504: D3F30064 1A033100
	s_add_u32 m0, 0xa00, s58                                   // 00000000450C: 807C3AFF 00000A00
	buffer_load_dword v52, s[4:7], 0 offen lds                 // 000000004514: E0511000 80010034
	v_mfma_f32_16x16x32_fp8_fp8 v[100:103], a[2:3], a[154:155], v[100:103]// 00000000451C: D3F30064 1D933502
	ds_read_b128 a[88:91], v58 offset:19072                    // 000000004524: DBFE4A80 5800003A
	v_mfma_f32_16x16x32_fp8_fp8 v[100:103], a[4:5], a[156:157], v[100:103]// 00000000452C: D3F30064 1D933904
	s_add_u32 m0, 0xb00, s58                                   // 000000004534: 807C3AFF 00000B00
	buffer_load_dword v53, s[4:7], 0 offen lds                 // 00000000453C: E0511000 80010035
	v_mfma_f32_16x16x32_fp8_fp8 v[100:103], a[6:7], a[158:159], v[100:103]// 000000004544: D3F30064 1D933D06
	ds_read_b128 a[92:95], v58 offset:19136                    // 00000000454C: DBFE4AC0 5C00003A
	v_mul_f32_e32 v4, v236, v193                               // 000000004554: 0A0983EC
	v_mov_b32_e32 v5, v4                                       // 000000004558: 7E0A0304
	v_mfma_f32_16x16x32_fp8_fp8 v[104:107], a[8:9], a[152:153], 0// 00000000455C: D3F30068 1A033108
	v_mfma_f32_16x16x32_fp8_fp8 v[104:107], a[10:11], a[154:155], v[104:107]// 000000004564: D3F30068 1DA3350A
	buffer_load_dword v193, v244, s[20:23], 0 offen            // 00000000456C: E0501000 8005C1F4
	v_mfma_f32_16x16x32_fp8_fp8 v[104:107], a[12:13], a[156:157], v[104:107]// 000000004574: D3F30068 1DA3390C
	v_mfma_f32_16x16x32_fp8_fp8 v[104:107], a[14:15], a[158:159], v[104:107]// 00000000457C: D3F30068 1DA33D0E
	v_pk_fma_f32 v[164:165], v[4:5], v[100:101], v[164:165]    // 000000004584: D3B040A4 1E92C904
	v_pk_fma_f32 v[166:167], v[4:5], v[102:103], v[166:167]    // 00000000458C: D3B040A6 1E9ACD04
	v_pk_fma_f32 v[168:169], v[4:5], v[104:105], v[168:169]    // 000000004594: D3B040A8 1EA2D104
	v_pk_fma_f32 v[170:171], v[4:5], v[106:107], v[170:171]    // 00000000459C: D3B040AA 1EAAD504
	v_mfma_f32_16x16x32_fp8_fp8 v[108:111], a[0:1], a[160:161], 0// 0000000045A4: D3F3006C 1A034100
	s_add_u32 m0, 0xc00, s58                                   // 0000000045AC: 807C3AFF 00000C00
	buffer_load_dword v54, s[4:7], 0 offen lds                 // 0000000045B4: E0511000 80010036
	v_mfma_f32_16x16x32_fp8_fp8 v[108:111], a[2:3], a[162:163], v[108:111]// 0000000045BC: D3F3006C 1DB34502
	ds_read_b128 a[96:99], v58 offset:19584                    // 0000000045C4: DBFE4C80 6000003A
	v_mfma_f32_16x16x32_fp8_fp8 v[108:111], a[4:5], a[164:165], v[108:111]// 0000000045CC: D3F3006C 1DB34904
	s_add_u32 m0, 0xd00, s58                                   // 0000000045D4: 807C3AFF 00000D00
	buffer_load_dword v55, s[4:7], 0 offen lds                 // 0000000045DC: E0511000 80010037
	v_mfma_f32_16x16x32_fp8_fp8 v[108:111], a[6:7], a[166:167], v[108:111]// 0000000045E4: D3F3006C 1DB34D06
	ds_read_b128 a[100:103], v58 offset:19648                  // 0000000045EC: DBFE4CC0 6400003A
	v_mul_f32_e32 v4, v236, v194                               // 0000000045F4: 0A0985EC
	v_mov_b32_e32 v5, v4                                       // 0000000045F8: 7E0A0304
	v_mfma_f32_16x16x32_fp8_fp8 v[112:115], a[8:9], a[160:161], 0// 0000000045FC: D3F30070 1A034108
	v_mfma_f32_16x16x32_fp8_fp8 v[112:115], a[10:11], a[162:163], v[112:115]// 000000004604: D3F30070 1DC3450A
	buffer_load_dword v194, v245, s[20:23], 0 offen            // 00000000460C: E0501000 8005C2F5
	v_mfma_f32_16x16x32_fp8_fp8 v[112:115], a[12:13], a[164:165], v[112:115]// 000000004614: D3F30070 1DC3490C
	v_mfma_f32_16x16x32_fp8_fp8 v[112:115], a[14:15], a[166:167], v[112:115]// 00000000461C: D3F30070 1DC34D0E
	v_pk_fma_f32 v[172:173], v[4:5], v[108:109], v[172:173]    // 000000004624: D3B040AC 1EB2D904
	v_pk_fma_f32 v[174:175], v[4:5], v[110:111], v[174:175]    // 00000000462C: D3B040AE 1EBADD04
	v_pk_fma_f32 v[176:177], v[4:5], v[112:113], v[176:177]    // 000000004634: D3B040B0 1EC2E104
	v_pk_fma_f32 v[178:179], v[4:5], v[114:115], v[178:179]    // 00000000463C: D3B040B2 1ECAE504
	v_mfma_f32_16x16x32_fp8_fp8 v[116:119], a[0:1], a[168:169], 0// 000000004644: D3F30074 1A035100
	s_add_u32 m0, 0xe00, s58                                   // 00000000464C: 807C3AFF 00000E00
	buffer_load_dword v56, s[4:7], 0 offen lds                 // 000000004654: E0511000 80010038
	v_mfma_f32_16x16x32_fp8_fp8 v[116:119], a[2:3], a[170:171], v[116:119]// 00000000465C: D3F30074 1DD35502
	ds_read_b128 a[104:107], v58 offset:20096                  // 000000004664: DBFE4E80 6800003A
	v_mfma_f32_16x16x32_fp8_fp8 v[116:119], a[4:5], a[172:173], v[116:119]// 00000000466C: D3F30074 1DD35904
	s_add_u32 m0, 0xf00, s58                                   // 000000004674: 807C3AFF 00000F00
	buffer_load_dword v57, s[4:7], 0 offen lds                 // 00000000467C: E0511000 80010039
	v_mfma_f32_16x16x32_fp8_fp8 v[116:119], a[6:7], a[174:175], v[116:119]// 000000004684: D3F30074 1DD35D06
	ds_read_b128 a[108:111], v58 offset:20160                  // 00000000468C: DBFE4EC0 6C00003A
	v_mul_f32_e32 v4, v236, v195                               // 000000004694: 0A0987EC
	v_mov_b32_e32 v5, v4                                       // 000000004698: 7E0A0304
	v_mfma_f32_16x16x32_fp8_fp8 v[120:123], a[8:9], a[168:169], 0// 00000000469C: D3F30078 1A035108
	v_mfma_f32_16x16x32_fp8_fp8 v[120:123], a[10:11], a[170:171], v[120:123]// 0000000046A4: D3F30078 1DE3550A
	buffer_load_dword v195, v246, s[20:23], 0 offen            // 0000000046AC: E0501000 8005C3F6
	s_add_u32 s50, 0x200, s42                                  // 0000000046B4: 80322AFF 00000200
	s_cmp_lt_u32 s50, s43                                      // 0000000046BC: BF0A2B32
	s_cselect_b32 s54, s54, 0                                  // 0000000046C0: 85368036
	s_add_u32 s50, 0x180, s42                                  // 0000000046C4: 80322AFF 00000180
	s_cmp_lt_u32 s50, s43                                      // 0000000046CC: BF0A2B32
	s_cselect_b32 s55, s55, 0                                  // 0000000046D0: 85378037
	s_add_u32 s50, 0x200, s42                                  // 0000000046D4: 80322AFF 00000200
	s_cmp_lt_u32 s50, s43                                      // 0000000046DC: BF0A2B32
	s_cselect_b32 s56, s56, 0                                  // 0000000046E0: 85388038
	s_add_u32 s50, 0x180, s42                                  // 0000000046E4: 80322AFF 00000180
	s_cmp_lt_u32 s50, s43                                      // 0000000046EC: BF0A2B32
	s_cselect_b32 s57, s57, 0                                  // 0000000046F0: 85398039
	v_mfma_f32_16x16x32_fp8_fp8 v[120:123], a[12:13], a[172:173], v[120:123]// 0000000046F4: D3F30078 1DE3590C
	v_mfma_f32_16x16x32_fp8_fp8 v[120:123], a[14:15], a[174:175], v[120:123]// 0000000046FC: D3F30078 1DE35D0E
	buffer_load_dword v238, v255, s[24:27], 0 offen            // 000000004704: E0501000 8006EEFF
	s_add_u32 s4, s54, s4                                      // 00000000470C: 80040436
	s_addc_u32 s5, 0, s5                                       // 000000004710: 82050580
	s_sub_u32 s6, s6, s54                                      // 000000004714: 80863606
	s_add_u32 s8, s55, s8                                      // 000000004718: 80080837
	s_addc_u32 s9, 0, s9                                       // 00000000471C: 82090980
	s_sub_u32 s10, s10, s55                                    // 000000004720: 808A370A
	s_add_u32 s20, s56, s20                                    // 000000004724: 80141438
	s_addc_u32 s21, 0, s21                                     // 000000004728: 82151580
	s_add_u32 s24, s57, s24                                    // 00000000472C: 80181839
	s_addc_u32 s25, 0, s25                                     // 000000004730: 82191980
	s_sub_u32 s26, s26, s57                                    // 000000004734: 809A391A
	v_pk_fma_f32 v[180:181], v[4:5], v[116:117], v[180:181]    // 000000004738: D3B040B4 1ED2E904
	v_pk_fma_f32 v[182:183], v[4:5], v[118:119], v[182:183]    // 000000004740: D3B040B6 1EDAED04
	v_pk_fma_f32 v[184:185], v[4:5], v[120:121], v[184:185]    // 000000004748: D3B040B8 1EE2F104
	v_pk_fma_f32 v[186:187], v[4:5], v[122:123], v[186:187]    // 000000004750: D3B040BA 1EEAF504
	s_addk_i32 s42, 0x80                                       // 000000004758: B72A0080
	s_cmp_lt_i32 s42, s43                                      // 00000000475C: BF042B2A
	s_cbranch_scc0 label_0BEC                                  // 000000004760: BF8402D3
	s_waitcnt vmcnt(28) lgkmcnt(0)                             // 000000004764: BF8C407C
	s_barrier                                                  // 000000004768: BF8A0000
	v_mfma_f32_16x16x32_fp8_fp8 v[60:63], a[16:17], a[48:49], 0// 00000000476C: D3F3003C 1A026110
	s_add_u32 m0, 0, s59                                       // 000000004774: 807C3B80
	buffer_load_dword v42, s[4:7], 0 offen lds                 // 000000004778: E0511000 8001002A
	v_mfma_f32_16x16x32_fp8_fp8 v[60:63], a[18:19], a[50:51], v[60:63]// 000000004780: D3F3003C 1CF26512
	ds_read_b128 a[112:115], v58 offset:33024                  // 000000004788: DBFE8100 7000003A
	v_mfma_f32_16x16x32_fp8_fp8 v[60:63], a[20:21], a[52:53], v[60:63]// 000000004790: D3F3003C 1CF26914
	s_add_u32 m0, 0x100, s59                                   // 000000004798: 807C3BFF 00000100
	buffer_load_dword v43, s[4:7], 0 offen lds                 // 0000000047A0: E0511000 8001002B
	v_mfma_f32_16x16x32_fp8_fp8 v[60:63], a[22:23], a[54:55], v[60:63]// 0000000047A8: D3F3003C 1CF26D16
	ds_read_b128 a[116:119], v58 offset:33088                  // 0000000047B0: DBFE8140 7400003A
	v_mul_f32_e32 v4, v237, v196                               // 0000000047B8: 0A0989ED
	v_mov_b32_e32 v5, v4                                       // 0000000047BC: 7E0A0304
	v_mfma_f32_16x16x32_fp8_fp8 v[64:67], a[24:25], a[48:49], 0// 0000000047C0: D3F30040 1A026118
	buffer_load_dwordx4 a[0:3], v38, s[8:11], 0 offen          // 0000000047C8: E05C1000 80820026
	v_mfma_f32_16x16x32_fp8_fp8 v[64:67], a[26:27], a[50:51], v[64:67]// 0000000047D0: D3F30040 1D02651A
	buffer_load_dword v196, v239, s[20:23], 0 offen            // 0000000047D8: E0501000 8005C4EF
	v_mfma_f32_16x16x32_fp8_fp8 v[64:67], a[28:29], a[52:53], v[64:67]// 0000000047E0: D3F30040 1D02691C
	buffer_load_dwordx4 a[4:7], v39, s[8:11], 0 offen          // 0000000047E8: E05C1000 80820427
	v_mfma_f32_16x16x32_fp8_fp8 v[64:67], a[30:31], a[54:55], v[64:67]// 0000000047F0: D3F30040 1D026D1E
	v_pk_fma_f32 v[124:125], v[4:5], v[60:61], v[124:125]      // 0000000047F8: D3B0407C 1DF27904
	v_pk_fma_f32 v[126:127], v[4:5], v[62:63], v[126:127]      // 000000004800: D3B0407E 1DFA7D04
	v_pk_fma_f32 v[128:129], v[4:5], v[64:65], v[128:129]      // 000000004808: D3B04080 1E028104
	v_pk_fma_f32 v[130:131], v[4:5], v[66:67], v[130:131]      // 000000004810: D3B04082 1E0A8504
	v_mfma_f32_16x16x32_fp8_fp8 v[68:71], a[16:17], a[56:57], 0// 000000004818: D3F30044 1A027110
	s_add_u32 m0, 0x200, s59                                   // 000000004820: 807C3BFF 00000200
	buffer_load_dword v44, s[4:7], 0 offen lds                 // 000000004828: E0511000 8001002C
	v_mfma_f32_16x16x32_fp8_fp8 v[68:71], a[18:19], a[58:59], v[68:71]// 000000004830: D3F30044 1D127512
	ds_read_b128 a[120:123], v58 offset:33536                  // 000000004838: DBFE8300 7800003A
	v_mfma_f32_16x16x32_fp8_fp8 v[68:71], a[20:21], a[60:61], v[68:71]// 000000004840: D3F30044 1D127914
	s_add_u32 m0, 0x300, s59                                   // 000000004848: 807C3BFF 00000300
	buffer_load_dword v45, s[4:7], 0 offen lds                 // 000000004850: E0511000 8001002D
	v_mfma_f32_16x16x32_fp8_fp8 v[68:71], a[22:23], a[62:63], v[68:71]// 000000004858: D3F30044 1D127D16
	ds_read_b128 a[124:127], v58 offset:33600                  // 000000004860: DBFE8340 7C00003A
	v_mul_f32_e32 v4, v237, v197                               // 000000004868: 0A098BED
	v_mov_b32_e32 v5, v4                                       // 00000000486C: 7E0A0304
	v_mfma_f32_16x16x32_fp8_fp8 v[72:75], a[24:25], a[56:57], 0// 000000004870: D3F30048 1A027118
	buffer_load_dwordx4 a[8:11], v40, s[8:11], 0 offen         // 000000004878: E05C1000 80820828
	v_mfma_f32_16x16x32_fp8_fp8 v[72:75], a[26:27], a[58:59], v[72:75]// 000000004880: D3F30048 1D22751A
	buffer_load_dword v197, v240, s[20:23], 0 offen            // 000000004888: E0501000 8005C5F0
	v_mfma_f32_16x16x32_fp8_fp8 v[72:75], a[28:29], a[60:61], v[72:75]// 000000004890: D3F30048 1D22791C
	buffer_load_dwordx4 a[12:15], v41, s[8:11], 0 offen        // 000000004898: E05C1000 80820C29
	v_mfma_f32_16x16x32_fp8_fp8 v[72:75], a[30:31], a[62:63], v[72:75]// 0000000048A0: D3F30048 1D227D1E
	v_pk_fma_f32 v[132:133], v[4:5], v[68:69], v[132:133]      // 0000000048A8: D3B04084 1E128904
	v_pk_fma_f32 v[134:135], v[4:5], v[70:71], v[134:135]      // 0000000048B0: D3B04086 1E1A8D04
	v_pk_fma_f32 v[136:137], v[4:5], v[72:73], v[136:137]      // 0000000048B8: D3B04088 1E229104
	v_pk_fma_f32 v[138:139], v[4:5], v[74:75], v[138:139]      // 0000000048C0: D3B0408A 1E2A9504
	v_mfma_f32_16x16x32_fp8_fp8 v[76:79], a[16:17], a[64:65], 0// 0000000048C8: D3F3004C 1A028110
	s_add_u32 m0, 0x400, s59                                   // 0000000048D0: 807C3BFF 00000400
	buffer_load_dword v46, s[4:7], 0 offen lds                 // 0000000048D8: E0511000 8001002E
	v_mfma_f32_16x16x32_fp8_fp8 v[76:79], a[18:19], a[66:67], v[76:79]// 0000000048E0: D3F3004C 1D328512
	ds_read_b128 a[128:131], v58 offset:34048                  // 0000000048E8: DBFE8500 8000003A
	v_mfma_f32_16x16x32_fp8_fp8 v[76:79], a[20:21], a[68:69], v[76:79]// 0000000048F0: D3F3004C 1D328914
	s_add_u32 m0, 0x500, s59                                   // 0000000048F8: 807C3BFF 00000500
	buffer_load_dword v47, s[4:7], 0 offen lds                 // 000000004900: E0511000 8001002F
	v_mfma_f32_16x16x32_fp8_fp8 v[76:79], a[22:23], a[70:71], v[76:79]// 000000004908: D3F3004C 1D328D16
	ds_read_b128 a[132:135], v58 offset:34112                  // 000000004910: DBFE8540 8400003A
	v_mul_f32_e32 v4, v237, v198                               // 000000004918: 0A098DED
	v_mov_b32_e32 v5, v4                                       // 00000000491C: 7E0A0304
	v_mfma_f32_16x16x32_fp8_fp8 v[80:83], a[24:25], a[64:65], 0// 000000004920: D3F30050 1A028118
	v_mfma_f32_16x16x32_fp8_fp8 v[80:83], a[26:27], a[66:67], v[80:83]// 000000004928: D3F30050 1D42851A
	buffer_load_dword v198, v241, s[20:23], 0 offen            // 000000004930: E0501000 8005C6F1
	v_mfma_f32_16x16x32_fp8_fp8 v[80:83], a[28:29], a[68:69], v[80:83]// 000000004938: D3F30050 1D42891C
	v_mfma_f32_16x16x32_fp8_fp8 v[80:83], a[30:31], a[70:71], v[80:83]// 000000004940: D3F30050 1D428D1E
	v_pk_fma_f32 v[140:141], v[4:5], v[76:77], v[140:141]      // 000000004948: D3B0408C 1E329904
	v_pk_fma_f32 v[142:143], v[4:5], v[78:79], v[142:143]      // 000000004950: D3B0408E 1E3A9D04
	v_pk_fma_f32 v[144:145], v[4:5], v[80:81], v[144:145]      // 000000004958: D3B04090 1E42A104
	v_pk_fma_f32 v[146:147], v[4:5], v[82:83], v[146:147]      // 000000004960: D3B04092 1E4AA504
	v_mfma_f32_16x16x32_fp8_fp8 v[84:87], a[16:17], a[72:73], 0// 000000004968: D3F30054 1A029110
	s_add_u32 m0, 0x600, s59                                   // 000000004970: 807C3BFF 00000600
	buffer_load_dword v48, s[4:7], 0 offen lds                 // 000000004978: E0511000 80010030
	v_mfma_f32_16x16x32_fp8_fp8 v[84:87], a[18:19], a[74:75], v[84:87]// 000000004980: D3F30054 1D529512
	ds_read_b128 a[136:139], v58 offset:34560                  // 000000004988: DBFE8700 8800003A
	v_mfma_f32_16x16x32_fp8_fp8 v[84:87], a[20:21], a[76:77], v[84:87]// 000000004990: D3F30054 1D529914
	s_add_u32 m0, 0x700, s59                                   // 000000004998: 807C3BFF 00000700
	buffer_load_dword v49, s[4:7], 0 offen lds                 // 0000000049A0: E0511000 80010031
	v_mfma_f32_16x16x32_fp8_fp8 v[84:87], a[22:23], a[78:79], v[84:87]// 0000000049A8: D3F30054 1D529D16
	ds_read_b128 a[140:143], v58 offset:34624                  // 0000000049B0: DBFE8740 8C00003A
	v_mul_f32_e32 v4, v237, v199                               // 0000000049B8: 0A098FED
	v_mov_b32_e32 v5, v4                                       // 0000000049BC: 7E0A0304
	v_mfma_f32_16x16x32_fp8_fp8 v[88:91], a[24:25], a[72:73], 0// 0000000049C0: D3F30058 1A029118
	v_mfma_f32_16x16x32_fp8_fp8 v[88:91], a[26:27], a[74:75], v[88:91]// 0000000049C8: D3F30058 1D62951A
	buffer_load_dword v199, v242, s[20:23], 0 offen            // 0000000049D0: E0501000 8005C7F2
	v_mfma_f32_16x16x32_fp8_fp8 v[88:91], a[28:29], a[76:77], v[88:91]// 0000000049D8: D3F30058 1D62991C
	v_mfma_f32_16x16x32_fp8_fp8 v[88:91], a[30:31], a[78:79], v[88:91]// 0000000049E0: D3F30058 1D629D1E
	v_pk_fma_f32 v[148:149], v[4:5], v[84:85], v[148:149]      // 0000000049E8: D3B04094 1E52A904
	v_pk_fma_f32 v[150:151], v[4:5], v[86:87], v[150:151]      // 0000000049F0: D3B04096 1E5AAD04
	v_pk_fma_f32 v[152:153], v[4:5], v[88:89], v[152:153]      // 0000000049F8: D3B04098 1E62B104
	v_pk_fma_f32 v[154:155], v[4:5], v[90:91], v[154:155]      // 000000004A00: D3B0409A 1E6AB504
	v_mfma_f32_16x16x32_fp8_fp8 v[92:95], a[16:17], a[80:81], 0// 000000004A08: D3F3005C 1A02A110
	s_add_u32 m0, 0x800, s59                                   // 000000004A10: 807C3BFF 00000800
	buffer_load_dword v50, s[4:7], 0 offen lds                 // 000000004A18: E0511000 80010032
	v_mfma_f32_16x16x32_fp8_fp8 v[92:95], a[18:19], a[82:83], v[92:95]// 000000004A20: D3F3005C 1D72A512
	ds_read_b128 a[144:147], v58 offset:35072                  // 000000004A28: DBFE8900 9000003A
	v_mfma_f32_16x16x32_fp8_fp8 v[92:95], a[20:21], a[84:85], v[92:95]// 000000004A30: D3F3005C 1D72A914
	s_add_u32 m0, 0x900, s59                                   // 000000004A38: 807C3BFF 00000900
	buffer_load_dword v51, s[4:7], 0 offen lds                 // 000000004A40: E0511000 80010033
	v_mfma_f32_16x16x32_fp8_fp8 v[92:95], a[22:23], a[86:87], v[92:95]// 000000004A48: D3F3005C 1D72AD16
	ds_read_b128 a[148:151], v58 offset:35136                  // 000000004A50: DBFE8940 9400003A
	v_mul_f32_e32 v4, v237, v200                               // 000000004A58: 0A0991ED
	v_mov_b32_e32 v5, v4                                       // 000000004A5C: 7E0A0304
	v_mfma_f32_16x16x32_fp8_fp8 v[96:99], a[24:25], a[80:81], 0// 000000004A60: D3F30060 1A02A118
	v_mfma_f32_16x16x32_fp8_fp8 v[96:99], a[26:27], a[82:83], v[96:99]// 000000004A68: D3F30060 1D82A51A
	buffer_load_dword v200, v243, s[20:23], 0 offen            // 000000004A70: E0501000 8005C8F3
	v_mfma_f32_16x16x32_fp8_fp8 v[96:99], a[28:29], a[84:85], v[96:99]// 000000004A78: D3F30060 1D82A91C
	v_mfma_f32_16x16x32_fp8_fp8 v[96:99], a[30:31], a[86:87], v[96:99]// 000000004A80: D3F30060 1D82AD1E
	v_pk_fma_f32 v[156:157], v[4:5], v[92:93], v[156:157]      // 000000004A88: D3B0409C 1E72B904
	v_pk_fma_f32 v[158:159], v[4:5], v[94:95], v[158:159]      // 000000004A90: D3B0409E 1E7ABD04
	v_pk_fma_f32 v[160:161], v[4:5], v[96:97], v[160:161]      // 000000004A98: D3B040A0 1E82C104
	v_pk_fma_f32 v[162:163], v[4:5], v[98:99], v[162:163]      // 000000004AA0: D3B040A2 1E8AC504
	v_mfma_f32_16x16x32_fp8_fp8 v[100:103], a[16:17], a[88:89], 0// 000000004AA8: D3F30064 1A02B110
	s_add_u32 m0, 0xa00, s59                                   // 000000004AB0: 807C3BFF 00000A00
	buffer_load_dword v52, s[4:7], 0 offen lds                 // 000000004AB8: E0511000 80010034
	v_mfma_f32_16x16x32_fp8_fp8 v[100:103], a[18:19], a[90:91], v[100:103]// 000000004AC0: D3F30064 1D92B512
	ds_read_b128 a[152:155], v58 offset:35584                  // 000000004AC8: DBFE8B00 9800003A
	v_mfma_f32_16x16x32_fp8_fp8 v[100:103], a[20:21], a[92:93], v[100:103]// 000000004AD0: D3F30064 1D92B914
	s_add_u32 m0, 0xb00, s59                                   // 000000004AD8: 807C3BFF 00000B00
	buffer_load_dword v53, s[4:7], 0 offen lds                 // 000000004AE0: E0511000 80010035
	v_mfma_f32_16x16x32_fp8_fp8 v[100:103], a[22:23], a[94:95], v[100:103]// 000000004AE8: D3F30064 1D92BD16
	ds_read_b128 a[156:159], v58 offset:35648                  // 000000004AF0: DBFE8B40 9C00003A
	v_mul_f32_e32 v4, v237, v201                               // 000000004AF8: 0A0993ED
	v_mov_b32_e32 v5, v4                                       // 000000004AFC: 7E0A0304
	v_mfma_f32_16x16x32_fp8_fp8 v[104:107], a[24:25], a[88:89], 0// 000000004B00: D3F30068 1A02B118
	v_mfma_f32_16x16x32_fp8_fp8 v[104:107], a[26:27], a[90:91], v[104:107]// 000000004B08: D3F30068 1DA2B51A
	buffer_load_dword v201, v244, s[20:23], 0 offen            // 000000004B10: E0501000 8005C9F4
	v_mfma_f32_16x16x32_fp8_fp8 v[104:107], a[28:29], a[92:93], v[104:107]// 000000004B18: D3F30068 1DA2B91C
	v_mfma_f32_16x16x32_fp8_fp8 v[104:107], a[30:31], a[94:95], v[104:107]// 000000004B20: D3F30068 1DA2BD1E
	v_pk_fma_f32 v[164:165], v[4:5], v[100:101], v[164:165]    // 000000004B28: D3B040A4 1E92C904
	v_pk_fma_f32 v[166:167], v[4:5], v[102:103], v[166:167]    // 000000004B30: D3B040A6 1E9ACD04
	v_pk_fma_f32 v[168:169], v[4:5], v[104:105], v[168:169]    // 000000004B38: D3B040A8 1EA2D104
	v_pk_fma_f32 v[170:171], v[4:5], v[106:107], v[170:171]    // 000000004B40: D3B040AA 1EAAD504
	v_mfma_f32_16x16x32_fp8_fp8 v[108:111], a[16:17], a[96:97], 0// 000000004B48: D3F3006C 1A02C110
	s_add_u32 m0, 0xc00, s59                                   // 000000004B50: 807C3BFF 00000C00
	buffer_load_dword v54, s[4:7], 0 offen lds                 // 000000004B58: E0511000 80010036
	v_mfma_f32_16x16x32_fp8_fp8 v[108:111], a[18:19], a[98:99], v[108:111]// 000000004B60: D3F3006C 1DB2C512
	ds_read_b128 a[160:163], v58 offset:36096                  // 000000004B68: DBFE8D00 A000003A
	v_mfma_f32_16x16x32_fp8_fp8 v[108:111], a[20:21], a[100:101], v[108:111]// 000000004B70: D3F3006C 1DB2C914
	s_add_u32 m0, 0xd00, s59                                   // 000000004B78: 807C3BFF 00000D00
	buffer_load_dword v55, s[4:7], 0 offen lds                 // 000000004B80: E0511000 80010037
	v_mfma_f32_16x16x32_fp8_fp8 v[108:111], a[22:23], a[102:103], v[108:111]// 000000004B88: D3F3006C 1DB2CD16
	ds_read_b128 a[164:167], v58 offset:36160                  // 000000004B90: DBFE8D40 A400003A
	v_mul_f32_e32 v4, v237, v202                               // 000000004B98: 0A0995ED
	v_mov_b32_e32 v5, v4                                       // 000000004B9C: 7E0A0304
	v_mfma_f32_16x16x32_fp8_fp8 v[112:115], a[24:25], a[96:97], 0// 000000004BA0: D3F30070 1A02C118
	v_mfma_f32_16x16x32_fp8_fp8 v[112:115], a[26:27], a[98:99], v[112:115]// 000000004BA8: D3F30070 1DC2C51A
	buffer_load_dword v202, v245, s[20:23], 0 offen            // 000000004BB0: E0501000 8005CAF5
	v_mfma_f32_16x16x32_fp8_fp8 v[112:115], a[28:29], a[100:101], v[112:115]// 000000004BB8: D3F30070 1DC2C91C
	v_mfma_f32_16x16x32_fp8_fp8 v[112:115], a[30:31], a[102:103], v[112:115]// 000000004BC0: D3F30070 1DC2CD1E
	v_pk_fma_f32 v[172:173], v[4:5], v[108:109], v[172:173]    // 000000004BC8: D3B040AC 1EB2D904
	v_pk_fma_f32 v[174:175], v[4:5], v[110:111], v[174:175]    // 000000004BD0: D3B040AE 1EBADD04
	v_pk_fma_f32 v[176:177], v[4:5], v[112:113], v[176:177]    // 000000004BD8: D3B040B0 1EC2E104
	v_pk_fma_f32 v[178:179], v[4:5], v[114:115], v[178:179]    // 000000004BE0: D3B040B2 1ECAE504
	v_mfma_f32_16x16x32_fp8_fp8 v[116:119], a[16:17], a[104:105], 0// 000000004BE8: D3F30074 1A02D110
	s_add_u32 m0, 0xe00, s59                                   // 000000004BF0: 807C3BFF 00000E00
	buffer_load_dword v56, s[4:7], 0 offen lds                 // 000000004BF8: E0511000 80010038
	v_mfma_f32_16x16x32_fp8_fp8 v[116:119], a[18:19], a[106:107], v[116:119]// 000000004C00: D3F30074 1DD2D512
	ds_read_b128 a[168:171], v58 offset:36608                  // 000000004C08: DBFE8F00 A800003A
	v_mfma_f32_16x16x32_fp8_fp8 v[116:119], a[20:21], a[108:109], v[116:119]// 000000004C10: D3F30074 1DD2D914
	s_add_u32 m0, 0xf00, s59                                   // 000000004C18: 807C3BFF 00000F00
	buffer_load_dword v57, s[4:7], 0 offen lds                 // 000000004C20: E0511000 80010039
	v_mfma_f32_16x16x32_fp8_fp8 v[116:119], a[22:23], a[110:111], v[116:119]// 000000004C28: D3F30074 1DD2DD16
	ds_read_b128 a[172:175], v58 offset:36672                  // 000000004C30: DBFE8F40 AC00003A
	v_mul_f32_e32 v4, v237, v203                               // 000000004C38: 0A0997ED
	v_mov_b32_e32 v5, v4                                       // 000000004C3C: 7E0A0304
	v_mfma_f32_16x16x32_fp8_fp8 v[120:123], a[24:25], a[104:105], 0// 000000004C40: D3F30078 1A02D118
	v_mfma_f32_16x16x32_fp8_fp8 v[120:123], a[26:27], a[106:107], v[120:123]// 000000004C48: D3F30078 1DE2D51A
	buffer_load_dword v203, v246, s[20:23], 0 offen            // 000000004C50: E0501000 8005CBF6
	s_add_u32 s50, 0x200, s42                                  // 000000004C58: 80322AFF 00000200
	s_cmp_lt_u32 s50, s43                                      // 000000004C60: BF0A2B32
	s_cselect_b32 s54, s54, 0                                  // 000000004C64: 85368036
	s_add_u32 s50, 0x180, s42                                  // 000000004C68: 80322AFF 00000180
	s_cmp_lt_u32 s50, s43                                      // 000000004C70: BF0A2B32
	s_cselect_b32 s55, s55, 0                                  // 000000004C74: 85378037
	s_add_u32 s50, 0x200, s42                                  // 000000004C78: 80322AFF 00000200
	s_cmp_lt_u32 s50, s43                                      // 000000004C80: BF0A2B32
	s_cselect_b32 s56, s56, 0                                  // 000000004C84: 85388038
	s_add_u32 s50, 0x180, s42                                  // 000000004C88: 80322AFF 00000180
	s_cmp_lt_u32 s50, s43                                      // 000000004C90: BF0A2B32
	s_cselect_b32 s57, s57, 0                                  // 000000004C94: 85398039
	v_mfma_f32_16x16x32_fp8_fp8 v[120:123], a[28:29], a[108:109], v[120:123]// 000000004C98: D3F30078 1DE2D91C
	v_mfma_f32_16x16x32_fp8_fp8 v[120:123], a[30:31], a[110:111], v[120:123]// 000000004CA0: D3F30078 1DE2DD1E
	buffer_load_dword v236, v255, s[24:27], 0 offen            // 000000004CA8: E0501000 8006ECFF
	s_add_u32 s4, s54, s4                                      // 000000004CB0: 80040436
	s_addc_u32 s5, 0, s5                                       // 000000004CB4: 82050580
	s_sub_u32 s6, s6, s54                                      // 000000004CB8: 80863606
	s_add_u32 s8, s55, s8                                      // 000000004CBC: 80080837
	s_addc_u32 s9, 0, s9                                       // 000000004CC0: 82090980
	s_sub_u32 s10, s10, s55                                    // 000000004CC4: 808A370A
	s_add_u32 s20, s56, s20                                    // 000000004CC8: 80141438
	s_addc_u32 s21, 0, s21                                     // 000000004CCC: 82151580
	s_add_u32 s24, s57, s24                                    // 000000004CD0: 80181839
	s_addc_u32 s25, 0, s25                                     // 000000004CD4: 82191980
	s_sub_u32 s26, s26, s57                                    // 000000004CD8: 809A391A
	v_pk_fma_f32 v[180:181], v[4:5], v[116:117], v[180:181]    // 000000004CDC: D3B040B4 1ED2E904
	v_pk_fma_f32 v[182:183], v[4:5], v[118:119], v[182:183]    // 000000004CE4: D3B040B6 1EDAED04
	v_pk_fma_f32 v[184:185], v[4:5], v[120:121], v[184:185]    // 000000004CEC: D3B040B8 1EE2F104
	v_pk_fma_f32 v[186:187], v[4:5], v[122:123], v[186:187]    // 000000004CF4: D3B040BA 1EEAF504
	s_addk_i32 s42, 0x80                                       // 000000004CFC: B72A0080
	s_cmp_lt_i32 s42, s43                                      // 000000004D00: BF042B2A
	s_cbranch_scc0 label_0BEC                                  // 000000004D04: BF84016A
	s_waitcnt vmcnt(28) lgkmcnt(0)                             // 000000004D08: BF8C407C
	s_barrier                                                  // 000000004D0C: BF8A0000
	v_mfma_f32_16x16x32_fp8_fp8 v[60:63], a[32:33], a[112:113], 0// 000000004D10: D3F3003C 1A02E120
	s_add_u32 m0, 0, s60                                       // 000000004D18: 807C3C80
	buffer_load_dword v42, s[4:7], 0 offen lds                 // 000000004D1C: E0511000 8001002A
	v_mfma_f32_16x16x32_fp8_fp8 v[60:63], a[34:35], a[114:115], v[60:63]// 000000004D24: D3F3003C 1CF2E522
	ds_read_b128 a[48:51], v58                                 // 000000004D2C: DBFE0000 3000003A
	v_mfma_f32_16x16x32_fp8_fp8 v[60:63], a[36:37], a[116:117], v[60:63]// 000000004D34: D3F3003C 1CF2E924
	s_add_u32 m0, 0x100, s60                                   // 000000004D3C: 807C3CFF 00000100
	buffer_load_dword v43, s[4:7], 0 offen lds                 // 000000004D44: E0511000 8001002B
	v_mfma_f32_16x16x32_fp8_fp8 v[60:63], a[38:39], a[118:119], v[60:63]// 000000004D4C: D3F3003C 1CF2ED26
	ds_read_b128 a[52:55], v58 offset:64                       // 000000004D54: DBFE0040 3400003A
	v_mul_f32_e32 v4, v238, v204                               // 000000004D5C: 0A0999EE
	v_mov_b32_e32 v5, v4                                       // 000000004D60: 7E0A0304
	v_mfma_f32_16x16x32_fp8_fp8 v[64:67], a[40:41], a[112:113], 0// 000000004D64: D3F30040 1A02E128
	buffer_load_dwordx4 a[16:19], v38, s[8:11], 0 offen        // 000000004D6C: E05C1000 80821026
	v_mfma_f32_16x16x32_fp8_fp8 v[64:67], a[42:43], a[114:115], v[64:67]// 000000004D74: D3F30040 1D02E52A
	buffer_load_dword v204, v239, s[20:23], 0 offen            // 000000004D7C: E0501000 8005CCEF
	v_mfma_f32_16x16x32_fp8_fp8 v[64:67], a[44:45], a[116:117], v[64:67]// 000000004D84: D3F30040 1D02E92C
	buffer_load_dwordx4 a[20:23], v39, s[8:11], 0 offen        // 000000004D8C: E05C1000 80821427
	v_mfma_f32_16x16x32_fp8_fp8 v[64:67], a[46:47], a[118:119], v[64:67]// 000000004D94: D3F30040 1D02ED2E
	v_pk_fma_f32 v[124:125], v[4:5], v[60:61], v[124:125]      // 000000004D9C: D3B0407C 1DF27904
	v_pk_fma_f32 v[126:127], v[4:5], v[62:63], v[126:127]      // 000000004DA4: D3B0407E 1DFA7D04
	v_pk_fma_f32 v[128:129], v[4:5], v[64:65], v[128:129]      // 000000004DAC: D3B04080 1E028104
	v_pk_fma_f32 v[130:131], v[4:5], v[66:67], v[130:131]      // 000000004DB4: D3B04082 1E0A8504
	v_mfma_f32_16x16x32_fp8_fp8 v[68:71], a[32:33], a[120:121], 0// 000000004DBC: D3F30044 1A02F120
	s_add_u32 m0, 0x200, s60                                   // 000000004DC4: 807C3CFF 00000200
	buffer_load_dword v44, s[4:7], 0 offen lds                 // 000000004DCC: E0511000 8001002C
	v_mfma_f32_16x16x32_fp8_fp8 v[68:71], a[34:35], a[122:123], v[68:71]// 000000004DD4: D3F30044 1D12F522
	ds_read_b128 a[56:59], v58 offset:512                      // 000000004DDC: DBFE0200 3800003A
	v_mfma_f32_16x16x32_fp8_fp8 v[68:71], a[36:37], a[124:125], v[68:71]// 000000004DE4: D3F30044 1D12F924
	s_add_u32 m0, 0x300, s60                                   // 000000004DEC: 807C3CFF 00000300
	buffer_load_dword v45, s[4:7], 0 offen lds                 // 000000004DF4: E0511000 8001002D
	v_mfma_f32_16x16x32_fp8_fp8 v[68:71], a[38:39], a[126:127], v[68:71]// 000000004DFC: D3F30044 1D12FD26
	ds_read_b128 a[60:63], v58 offset:576                      // 000000004E04: DBFE0240 3C00003A
	v_mul_f32_e32 v4, v238, v205                               // 000000004E0C: 0A099BEE
	v_mov_b32_e32 v5, v4                                       // 000000004E10: 7E0A0304
	v_mfma_f32_16x16x32_fp8_fp8 v[72:75], a[40:41], a[120:121], 0// 000000004E14: D3F30048 1A02F128
	buffer_load_dwordx4 a[24:27], v40, s[8:11], 0 offen        // 000000004E1C: E05C1000 80821828
	v_mfma_f32_16x16x32_fp8_fp8 v[72:75], a[42:43], a[122:123], v[72:75]// 000000004E24: D3F30048 1D22F52A
	buffer_load_dword v205, v240, s[20:23], 0 offen            // 000000004E2C: E0501000 8005CDF0
	v_mfma_f32_16x16x32_fp8_fp8 v[72:75], a[44:45], a[124:125], v[72:75]// 000000004E34: D3F30048 1D22F92C
	buffer_load_dwordx4 a[28:31], v41, s[8:11], 0 offen        // 000000004E3C: E05C1000 80821C29
	v_mfma_f32_16x16x32_fp8_fp8 v[72:75], a[46:47], a[126:127], v[72:75]// 000000004E44: D3F30048 1D22FD2E
	v_pk_fma_f32 v[132:133], v[4:5], v[68:69], v[132:133]      // 000000004E4C: D3B04084 1E128904
	v_pk_fma_f32 v[134:135], v[4:5], v[70:71], v[134:135]      // 000000004E54: D3B04086 1E1A8D04
	v_pk_fma_f32 v[136:137], v[4:5], v[72:73], v[136:137]      // 000000004E5C: D3B04088 1E229104
	v_pk_fma_f32 v[138:139], v[4:5], v[74:75], v[138:139]      // 000000004E64: D3B0408A 1E2A9504
	v_mfma_f32_16x16x32_fp8_fp8 v[76:79], a[32:33], a[128:129], 0// 000000004E6C: D3F3004C 1A030120
	s_add_u32 m0, 0x400, s60                                   // 000000004E74: 807C3CFF 00000400
	buffer_load_dword v46, s[4:7], 0 offen lds                 // 000000004E7C: E0511000 8001002E
	v_mfma_f32_16x16x32_fp8_fp8 v[76:79], a[34:35], a[130:131], v[76:79]// 000000004E84: D3F3004C 1D330522
	ds_read_b128 a[64:67], v58 offset:1024                     // 000000004E8C: DBFE0400 4000003A
	v_mfma_f32_16x16x32_fp8_fp8 v[76:79], a[36:37], a[132:133], v[76:79]// 000000004E94: D3F3004C 1D330924
	s_add_u32 m0, 0x500, s60                                   // 000000004E9C: 807C3CFF 00000500
	buffer_load_dword v47, s[4:7], 0 offen lds                 // 000000004EA4: E0511000 8001002F
	v_mfma_f32_16x16x32_fp8_fp8 v[76:79], a[38:39], a[134:135], v[76:79]// 000000004EAC: D3F3004C 1D330D26
	ds_read_b128 a[68:71], v58 offset:1088                     // 000000004EB4: DBFE0440 4400003A
	v_mul_f32_e32 v4, v238, v206                               // 000000004EBC: 0A099DEE
	v_mov_b32_e32 v5, v4                                       // 000000004EC0: 7E0A0304
	v_mfma_f32_16x16x32_fp8_fp8 v[80:83], a[40:41], a[128:129], 0// 000000004EC4: D3F30050 1A030128
	v_mfma_f32_16x16x32_fp8_fp8 v[80:83], a[42:43], a[130:131], v[80:83]// 000000004ECC: D3F30050 1D43052A
	buffer_load_dword v206, v241, s[20:23], 0 offen            // 000000004ED4: E0501000 8005CEF1
	v_mfma_f32_16x16x32_fp8_fp8 v[80:83], a[44:45], a[132:133], v[80:83]// 000000004EDC: D3F30050 1D43092C
	v_mfma_f32_16x16x32_fp8_fp8 v[80:83], a[46:47], a[134:135], v[80:83]// 000000004EE4: D3F30050 1D430D2E
	v_pk_fma_f32 v[140:141], v[4:5], v[76:77], v[140:141]      // 000000004EEC: D3B0408C 1E329904
	v_pk_fma_f32 v[142:143], v[4:5], v[78:79], v[142:143]      // 000000004EF4: D3B0408E 1E3A9D04
	v_pk_fma_f32 v[144:145], v[4:5], v[80:81], v[144:145]      // 000000004EFC: D3B04090 1E42A104
	v_pk_fma_f32 v[146:147], v[4:5], v[82:83], v[146:147]      // 000000004F04: D3B04092 1E4AA504
	v_mfma_f32_16x16x32_fp8_fp8 v[84:87], a[32:33], a[136:137], 0// 000000004F0C: D3F30054 1A031120
	s_add_u32 m0, 0x600, s60                                   // 000000004F14: 807C3CFF 00000600
	buffer_load_dword v48, s[4:7], 0 offen lds                 // 000000004F1C: E0511000 80010030
	v_mfma_f32_16x16x32_fp8_fp8 v[84:87], a[34:35], a[138:139], v[84:87]// 000000004F24: D3F30054 1D531522
	ds_read_b128 a[72:75], v58 offset:1536                     // 000000004F2C: DBFE0600 4800003A
	v_mfma_f32_16x16x32_fp8_fp8 v[84:87], a[36:37], a[140:141], v[84:87]// 000000004F34: D3F30054 1D531924
	s_add_u32 m0, 0x700, s60                                   // 000000004F3C: 807C3CFF 00000700
	buffer_load_dword v49, s[4:7], 0 offen lds                 // 000000004F44: E0511000 80010031
	v_mfma_f32_16x16x32_fp8_fp8 v[84:87], a[38:39], a[142:143], v[84:87]// 000000004F4C: D3F30054 1D531D26
	ds_read_b128 a[76:79], v58 offset:1600                     // 000000004F54: DBFE0640 4C00003A
	v_mul_f32_e32 v4, v238, v207                               // 000000004F5C: 0A099FEE
	v_mov_b32_e32 v5, v4                                       // 000000004F60: 7E0A0304
	v_mfma_f32_16x16x32_fp8_fp8 v[88:91], a[40:41], a[136:137], 0// 000000004F64: D3F30058 1A031128
	v_mfma_f32_16x16x32_fp8_fp8 v[88:91], a[42:43], a[138:139], v[88:91]// 000000004F6C: D3F30058 1D63152A
	buffer_load_dword v207, v242, s[20:23], 0 offen            // 000000004F74: E0501000 8005CFF2
	v_mfma_f32_16x16x32_fp8_fp8 v[88:91], a[44:45], a[140:141], v[88:91]// 000000004F7C: D3F30058 1D63192C
	v_mfma_f32_16x16x32_fp8_fp8 v[88:91], a[46:47], a[142:143], v[88:91]// 000000004F84: D3F30058 1D631D2E
	v_pk_fma_f32 v[148:149], v[4:5], v[84:85], v[148:149]      // 000000004F8C: D3B04094 1E52A904
	v_pk_fma_f32 v[150:151], v[4:5], v[86:87], v[150:151]      // 000000004F94: D3B04096 1E5AAD04
	v_pk_fma_f32 v[152:153], v[4:5], v[88:89], v[152:153]      // 000000004F9C: D3B04098 1E62B104
	v_pk_fma_f32 v[154:155], v[4:5], v[90:91], v[154:155]      // 000000004FA4: D3B0409A 1E6AB504
	v_mfma_f32_16x16x32_fp8_fp8 v[92:95], a[32:33], a[144:145], 0// 000000004FAC: D3F3005C 1A032120
	s_add_u32 m0, 0x800, s60                                   // 000000004FB4: 807C3CFF 00000800
	buffer_load_dword v50, s[4:7], 0 offen lds                 // 000000004FBC: E0511000 80010032
	v_mfma_f32_16x16x32_fp8_fp8 v[92:95], a[34:35], a[146:147], v[92:95]// 000000004FC4: D3F3005C 1D732522
	ds_read_b128 a[80:83], v58 offset:2048                     // 000000004FCC: DBFE0800 5000003A
	v_mfma_f32_16x16x32_fp8_fp8 v[92:95], a[36:37], a[148:149], v[92:95]// 000000004FD4: D3F3005C 1D732924
	s_add_u32 m0, 0x900, s60                                   // 000000004FDC: 807C3CFF 00000900
	buffer_load_dword v51, s[4:7], 0 offen lds                 // 000000004FE4: E0511000 80010033
	v_mfma_f32_16x16x32_fp8_fp8 v[92:95], a[38:39], a[150:151], v[92:95]// 000000004FEC: D3F3005C 1D732D26
	ds_read_b128 a[84:87], v58 offset:2112                     // 000000004FF4: DBFE0840 5400003A
	v_mul_f32_e32 v4, v238, v208                               // 000000004FFC: 0A09A1EE
	v_mov_b32_e32 v5, v4                                       // 000000005000: 7E0A0304
	v_mfma_f32_16x16x32_fp8_fp8 v[96:99], a[40:41], a[144:145], 0// 000000005004: D3F30060 1A032128
	v_mfma_f32_16x16x32_fp8_fp8 v[96:99], a[42:43], a[146:147], v[96:99]// 00000000500C: D3F30060 1D83252A
	buffer_load_dword v208, v243, s[20:23], 0 offen            // 000000005014: E0501000 8005D0F3
	v_mfma_f32_16x16x32_fp8_fp8 v[96:99], a[44:45], a[148:149], v[96:99]// 00000000501C: D3F30060 1D83292C
	v_mfma_f32_16x16x32_fp8_fp8 v[96:99], a[46:47], a[150:151], v[96:99]// 000000005024: D3F30060 1D832D2E
	v_pk_fma_f32 v[156:157], v[4:5], v[92:93], v[156:157]      // 00000000502C: D3B0409C 1E72B904
	v_pk_fma_f32 v[158:159], v[4:5], v[94:95], v[158:159]      // 000000005034: D3B0409E 1E7ABD04
	v_pk_fma_f32 v[160:161], v[4:5], v[96:97], v[160:161]      // 00000000503C: D3B040A0 1E82C104
	v_pk_fma_f32 v[162:163], v[4:5], v[98:99], v[162:163]      // 000000005044: D3B040A2 1E8AC504
	v_mfma_f32_16x16x32_fp8_fp8 v[100:103], a[32:33], a[152:153], 0// 00000000504C: D3F30064 1A033120
	s_add_u32 m0, 0xa00, s60                                   // 000000005054: 807C3CFF 00000A00
	buffer_load_dword v52, s[4:7], 0 offen lds                 // 00000000505C: E0511000 80010034
	v_mfma_f32_16x16x32_fp8_fp8 v[100:103], a[34:35], a[154:155], v[100:103]// 000000005064: D3F30064 1D933522
	ds_read_b128 a[88:91], v58 offset:2560                     // 00000000506C: DBFE0A00 5800003A
	v_mfma_f32_16x16x32_fp8_fp8 v[100:103], a[36:37], a[156:157], v[100:103]// 000000005074: D3F30064 1D933924
	s_add_u32 m0, 0xb00, s60                                   // 00000000507C: 807C3CFF 00000B00
	buffer_load_dword v53, s[4:7], 0 offen lds                 // 000000005084: E0511000 80010035
	v_mfma_f32_16x16x32_fp8_fp8 v[100:103], a[38:39], a[158:159], v[100:103]// 00000000508C: D3F30064 1D933D26
	ds_read_b128 a[92:95], v58 offset:2624                     // 000000005094: DBFE0A40 5C00003A
	v_mul_f32_e32 v4, v238, v209                               // 00000000509C: 0A09A3EE
	v_mov_b32_e32 v5, v4                                       // 0000000050A0: 7E0A0304
	v_mfma_f32_16x16x32_fp8_fp8 v[104:107], a[40:41], a[152:153], 0// 0000000050A4: D3F30068 1A033128
	v_mfma_f32_16x16x32_fp8_fp8 v[104:107], a[42:43], a[154:155], v[104:107]// 0000000050AC: D3F30068 1DA3352A
	buffer_load_dword v209, v244, s[20:23], 0 offen            // 0000000050B4: E0501000 8005D1F4
	v_mfma_f32_16x16x32_fp8_fp8 v[104:107], a[44:45], a[156:157], v[104:107]// 0000000050BC: D3F30068 1DA3392C
	v_mfma_f32_16x16x32_fp8_fp8 v[104:107], a[46:47], a[158:159], v[104:107]// 0000000050C4: D3F30068 1DA33D2E
	v_pk_fma_f32 v[164:165], v[4:5], v[100:101], v[164:165]    // 0000000050CC: D3B040A4 1E92C904
	v_pk_fma_f32 v[166:167], v[4:5], v[102:103], v[166:167]    // 0000000050D4: D3B040A6 1E9ACD04
	v_pk_fma_f32 v[168:169], v[4:5], v[104:105], v[168:169]    // 0000000050DC: D3B040A8 1EA2D104
	v_pk_fma_f32 v[170:171], v[4:5], v[106:107], v[170:171]    // 0000000050E4: D3B040AA 1EAAD504
	v_mfma_f32_16x16x32_fp8_fp8 v[108:111], a[32:33], a[160:161], 0// 0000000050EC: D3F3006C 1A034120
	s_add_u32 m0, 0xc00, s60                                   // 0000000050F4: 807C3CFF 00000C00
	buffer_load_dword v54, s[4:7], 0 offen lds                 // 0000000050FC: E0511000 80010036
	v_mfma_f32_16x16x32_fp8_fp8 v[108:111], a[34:35], a[162:163], v[108:111]// 000000005104: D3F3006C 1DB34522
	ds_read_b128 a[96:99], v58 offset:3072                     // 00000000510C: DBFE0C00 6000003A
	v_mfma_f32_16x16x32_fp8_fp8 v[108:111], a[36:37], a[164:165], v[108:111]// 000000005114: D3F3006C 1DB34924
	s_add_u32 m0, 0xd00, s60                                   // 00000000511C: 807C3CFF 00000D00
	buffer_load_dword v55, s[4:7], 0 offen lds                 // 000000005124: E0511000 80010037
	v_mfma_f32_16x16x32_fp8_fp8 v[108:111], a[38:39], a[166:167], v[108:111]// 00000000512C: D3F3006C 1DB34D26
	ds_read_b128 a[100:103], v58 offset:3136                   // 000000005134: DBFE0C40 6400003A
	v_mul_f32_e32 v4, v238, v210                               // 00000000513C: 0A09A5EE
	v_mov_b32_e32 v5, v4                                       // 000000005140: 7E0A0304
	v_mfma_f32_16x16x32_fp8_fp8 v[112:115], a[40:41], a[160:161], 0// 000000005144: D3F30070 1A034128
	v_mfma_f32_16x16x32_fp8_fp8 v[112:115], a[42:43], a[162:163], v[112:115]// 00000000514C: D3F30070 1DC3452A
	buffer_load_dword v210, v245, s[20:23], 0 offen            // 000000005154: E0501000 8005D2F5
	v_mfma_f32_16x16x32_fp8_fp8 v[112:115], a[44:45], a[164:165], v[112:115]// 00000000515C: D3F30070 1DC3492C
	v_mfma_f32_16x16x32_fp8_fp8 v[112:115], a[46:47], a[166:167], v[112:115]// 000000005164: D3F30070 1DC34D2E
	v_pk_fma_f32 v[172:173], v[4:5], v[108:109], v[172:173]    // 00000000516C: D3B040AC 1EB2D904
	v_pk_fma_f32 v[174:175], v[4:5], v[110:111], v[174:175]    // 000000005174: D3B040AE 1EBADD04
	v_pk_fma_f32 v[176:177], v[4:5], v[112:113], v[176:177]    // 00000000517C: D3B040B0 1EC2E104
	v_pk_fma_f32 v[178:179], v[4:5], v[114:115], v[178:179]    // 000000005184: D3B040B2 1ECAE504
	v_mfma_f32_16x16x32_fp8_fp8 v[116:119], a[32:33], a[168:169], 0// 00000000518C: D3F30074 1A035120
	s_add_u32 m0, 0xe00, s60                                   // 000000005194: 807C3CFF 00000E00
	buffer_load_dword v56, s[4:7], 0 offen lds                 // 00000000519C: E0511000 80010038
	v_mfma_f32_16x16x32_fp8_fp8 v[116:119], a[34:35], a[170:171], v[116:119]// 0000000051A4: D3F30074 1DD35522
	ds_read_b128 a[104:107], v58 offset:3584                   // 0000000051AC: DBFE0E00 6800003A
	v_mfma_f32_16x16x32_fp8_fp8 v[116:119], a[36:37], a[172:173], v[116:119]// 0000000051B4: D3F30074 1DD35924
	s_add_u32 m0, 0xf00, s60                                   // 0000000051BC: 807C3CFF 00000F00
	buffer_load_dword v57, s[4:7], 0 offen lds                 // 0000000051C4: E0511000 80010039
	v_mfma_f32_16x16x32_fp8_fp8 v[116:119], a[38:39], a[174:175], v[116:119]// 0000000051CC: D3F30074 1DD35D26
	ds_read_b128 a[108:111], v58 offset:3648                   // 0000000051D4: DBFE0E40 6C00003A
	v_mul_f32_e32 v4, v238, v211                               // 0000000051DC: 0A09A7EE
	v_mov_b32_e32 v5, v4                                       // 0000000051E0: 7E0A0304
	v_mfma_f32_16x16x32_fp8_fp8 v[120:123], a[40:41], a[168:169], 0// 0000000051E4: D3F30078 1A035128
	v_mfma_f32_16x16x32_fp8_fp8 v[120:123], a[42:43], a[170:171], v[120:123]// 0000000051EC: D3F30078 1DE3552A
	buffer_load_dword v211, v246, s[20:23], 0 offen            // 0000000051F4: E0501000 8005D3F6
	s_add_u32 s50, 0x200, s42                                  // 0000000051FC: 80322AFF 00000200
	s_cmp_lt_u32 s50, s43                                      // 000000005204: BF0A2B32
	s_cselect_b32 s54, s54, 0                                  // 000000005208: 85368036
	s_add_u32 s50, 0x180, s42                                  // 00000000520C: 80322AFF 00000180
	s_cmp_lt_u32 s50, s43                                      // 000000005214: BF0A2B32
	s_cselect_b32 s55, s55, 0                                  // 000000005218: 85378037
	s_add_u32 s50, 0x200, s42                                  // 00000000521C: 80322AFF 00000200
	s_cmp_lt_u32 s50, s43                                      // 000000005224: BF0A2B32
	s_cselect_b32 s56, s56, 0                                  // 000000005228: 85388038
	s_add_u32 s50, 0x180, s42                                  // 00000000522C: 80322AFF 00000180
	s_cmp_lt_u32 s50, s43                                      // 000000005234: BF0A2B32
	s_cselect_b32 s57, s57, 0                                  // 000000005238: 85398039
	v_mfma_f32_16x16x32_fp8_fp8 v[120:123], a[44:45], a[172:173], v[120:123]// 00000000523C: D3F30078 1DE3592C
	v_mfma_f32_16x16x32_fp8_fp8 v[120:123], a[46:47], a[174:175], v[120:123]// 000000005244: D3F30078 1DE35D2E
	buffer_load_dword v237, v255, s[24:27], 0 offen            // 00000000524C: E0501000 8006EDFF
	s_add_u32 s4, s54, s4                                      // 000000005254: 80040436
	s_addc_u32 s5, 0, s5                                       // 000000005258: 82050580
	s_sub_u32 s6, s6, s54                                      // 00000000525C: 80863606
	s_add_u32 s8, s55, s8                                      // 000000005260: 80080837
	s_addc_u32 s9, 0, s9                                       // 000000005264: 82090980
	s_sub_u32 s10, s10, s55                                    // 000000005268: 808A370A
	s_add_u32 s20, s56, s20                                    // 00000000526C: 80141438
	s_addc_u32 s21, 0, s21                                     // 000000005270: 82151580
	s_add_u32 s24, s57, s24                                    // 000000005274: 80181839
	s_addc_u32 s25, 0, s25                                     // 000000005278: 82191980
	s_sub_u32 s26, s26, s57                                    // 00000000527C: 809A391A
	v_pk_fma_f32 v[180:181], v[4:5], v[116:117], v[180:181]    // 000000005280: D3B040B4 1ED2E904
	v_pk_fma_f32 v[182:183], v[4:5], v[118:119], v[182:183]    // 000000005288: D3B040B6 1EDAED04
	v_pk_fma_f32 v[184:185], v[4:5], v[120:121], v[184:185]    // 000000005290: D3B040B8 1EE2F104
	v_pk_fma_f32 v[186:187], v[4:5], v[122:123], v[186:187]    // 000000005298: D3B040BA 1EEAF504
	s_addk_i32 s42, 0x80                                       // 0000000052A0: B72A0080
	s_cmp_lt_i32 s42, s43                                      // 0000000052A4: BF042B2A
	s_cbranch_scc0 label_0BEC                                  // 0000000052A8: BF840001
	s_branch label_0375                                        // 0000000052AC: BF82F789

00000000000052b0 <label_0BEC>:
	s_cmp_eq_u32 s38, 1                                        // 0000000052B0: BF068126
	s_cbranch_scc1 label_0DD6                                  // 0000000052B4: BF8501E8
	v_add_f32_e32 v124, v124, v12                              // 0000000052B8: 02F8197C
	v_add_f32_e32 v125, v125, v13                              // 0000000052BC: 02FA1B7D
	v_perm_b32 v60, v125, v124, s48                            // 0000000052C0: D1ED003C 00C2F97D
	v_add_f32_e32 v126, v126, v14                              // 0000000052C8: 02FC1D7E
	v_add_f32_e32 v127, v127, v15                              // 0000000052CC: 02FE1F7F
	v_perm_b32 v61, v127, v126, s48                            // 0000000052D0: D1ED003D 00C2FD7F
	v_add_f32_e32 v128, v128, v16                              // 0000000052D8: 03002180
	v_add_f32_e32 v129, v129, v17                              // 0000000052DC: 03022381
	v_perm_b32 v62, v129, v128, s48                            // 0000000052E0: D1ED003E 00C30181
	v_add_f32_e32 v130, v130, v18                              // 0000000052E8: 03042582
	v_add_f32_e32 v131, v131, v19                              // 0000000052EC: 03062783
	v_perm_b32 v63, v131, v130, s48                            // 0000000052F0: D1ED003F 00C30583
	v_add_f32_e32 v132, v132, v12                              // 0000000052F8: 03081984
	v_add_f32_e32 v133, v133, v13                              // 0000000052FC: 030A1B85
	v_perm_b32 v64, v133, v132, s48                            // 000000005300: D1ED0040 00C30985
	v_add_f32_e32 v134, v134, v14                              // 000000005308: 030C1D86
	v_add_f32_e32 v135, v135, v15                              // 00000000530C: 030E1F87
	v_perm_b32 v65, v135, v134, s48                            // 000000005310: D1ED0041 00C30D87
	v_add_f32_e32 v136, v136, v16                              // 000000005318: 03102188
	v_add_f32_e32 v137, v137, v17                              // 00000000531C: 03122389
	v_perm_b32 v66, v137, v136, s48                            // 000000005320: D1ED0042 00C31189
	v_add_f32_e32 v138, v138, v18                              // 000000005328: 0314258A
	v_add_f32_e32 v139, v139, v19                              // 00000000532C: 0316278B
	v_perm_b32 v67, v139, v138, s48                            // 000000005330: D1ED0043 00C3158B
	v_add_f32_e32 v140, v140, v12                              // 000000005338: 0318198C
	v_add_f32_e32 v141, v141, v13                              // 00000000533C: 031A1B8D
	v_perm_b32 v68, v141, v140, s48                            // 000000005340: D1ED0044 00C3198D
	v_add_f32_e32 v142, v142, v14                              // 000000005348: 031C1D8E
	v_add_f32_e32 v143, v143, v15                              // 00000000534C: 031E1F8F
	v_perm_b32 v69, v143, v142, s48                            // 000000005350: D1ED0045 00C31D8F
	v_add_f32_e32 v144, v144, v16                              // 000000005358: 03202190
	v_add_f32_e32 v145, v145, v17                              // 00000000535C: 03222391
	v_perm_b32 v70, v145, v144, s48                            // 000000005360: D1ED0046 00C32191
	v_add_f32_e32 v146, v146, v18                              // 000000005368: 03242592
	v_add_f32_e32 v147, v147, v19                              // 00000000536C: 03262793
	v_perm_b32 v71, v147, v146, s48                            // 000000005370: D1ED0047 00C32593
	v_add_f32_e32 v148, v148, v12                              // 000000005378: 03281994
	v_add_f32_e32 v149, v149, v13                              // 00000000537C: 032A1B95
	v_perm_b32 v72, v149, v148, s48                            // 000000005380: D1ED0048 00C32995
	v_add_f32_e32 v150, v150, v14                              // 000000005388: 032C1D96
	v_add_f32_e32 v151, v151, v15                              // 00000000538C: 032E1F97
	v_perm_b32 v73, v151, v150, s48                            // 000000005390: D1ED0049 00C32D97
	v_add_f32_e32 v152, v152, v16                              // 000000005398: 03302198
	v_add_f32_e32 v153, v153, v17                              // 00000000539C: 03322399
	v_perm_b32 v74, v153, v152, s48                            // 0000000053A0: D1ED004A 00C33199
	v_add_f32_e32 v154, v154, v18                              // 0000000053A8: 0334259A
	v_add_f32_e32 v155, v155, v19                              // 0000000053AC: 0336279B
	v_perm_b32 v75, v155, v154, s48                            // 0000000053B0: D1ED004B 00C3359B
	v_add_f32_e32 v156, v156, v12                              // 0000000053B8: 0338199C
	v_add_f32_e32 v157, v157, v13                              // 0000000053BC: 033A1B9D
	v_perm_b32 v76, v157, v156, s48                            // 0000000053C0: D1ED004C 00C3399D
	v_add_f32_e32 v158, v158, v14                              // 0000000053C8: 033C1D9E
	v_add_f32_e32 v159, v159, v15                              // 0000000053CC: 033E1F9F
	v_perm_b32 v77, v159, v158, s48                            // 0000000053D0: D1ED004D 00C33D9F
	v_add_f32_e32 v160, v160, v16                              // 0000000053D8: 034021A0
	v_add_f32_e32 v161, v161, v17                              // 0000000053DC: 034223A1
	v_perm_b32 v78, v161, v160, s48                            // 0000000053E0: D1ED004E 00C341A1
	v_add_f32_e32 v162, v162, v18                              // 0000000053E8: 034425A2
	v_add_f32_e32 v163, v163, v19                              // 0000000053EC: 034627A3
	v_perm_b32 v79, v163, v162, s48                            // 0000000053F0: D1ED004F 00C345A3
	v_add_f32_e32 v164, v164, v12                              // 0000000053F8: 034819A4
	v_add_f32_e32 v165, v165, v13                              // 0000000053FC: 034A1BA5
	v_perm_b32 v80, v165, v164, s48                            // 000000005400: D1ED0050 00C349A5
	v_add_f32_e32 v166, v166, v14                              // 000000005408: 034C1DA6
	v_add_f32_e32 v167, v167, v15                              // 00000000540C: 034E1FA7
	v_perm_b32 v81, v167, v166, s48                            // 000000005410: D1ED0051 00C34DA7
	v_add_f32_e32 v168, v168, v16                              // 000000005418: 035021A8
	v_add_f32_e32 v169, v169, v17                              // 00000000541C: 035223A9
	v_perm_b32 v82, v169, v168, s48                            // 000000005420: D1ED0052 00C351A9
	v_add_f32_e32 v170, v170, v18                              // 000000005428: 035425AA
	v_add_f32_e32 v171, v171, v19                              // 00000000542C: 035627AB
	v_perm_b32 v83, v171, v170, s48                            // 000000005430: D1ED0053 00C355AB
	v_add_f32_e32 v172, v172, v12                              // 000000005438: 035819AC
	v_add_f32_e32 v173, v173, v13                              // 00000000543C: 035A1BAD
	v_perm_b32 v84, v173, v172, s48                            // 000000005440: D1ED0054 00C359AD
	v_add_f32_e32 v174, v174, v14                              // 000000005448: 035C1DAE
	v_add_f32_e32 v175, v175, v15                              // 00000000544C: 035E1FAF
	v_perm_b32 v85, v175, v174, s48                            // 000000005450: D1ED0055 00C35DAF
	v_add_f32_e32 v176, v176, v16                              // 000000005458: 036021B0
	v_add_f32_e32 v177, v177, v17                              // 00000000545C: 036223B1
	v_perm_b32 v86, v177, v176, s48                            // 000000005460: D1ED0056 00C361B1
	v_add_f32_e32 v178, v178, v18                              // 000000005468: 036425B2
	v_add_f32_e32 v179, v179, v19                              // 00000000546C: 036627B3
	v_perm_b32 v87, v179, v178, s48                            // 000000005470: D1ED0057 00C365B3
	v_add_f32_e32 v180, v180, v12                              // 000000005478: 036819B4
	v_add_f32_e32 v181, v181, v13                              // 00000000547C: 036A1BB5
	v_perm_b32 v88, v181, v180, s48                            // 000000005480: D1ED0058 00C369B5
	v_add_f32_e32 v182, v182, v14                              // 000000005488: 036C1DB6
	v_add_f32_e32 v183, v183, v15                              // 00000000548C: 036E1FB7
	v_perm_b32 v89, v183, v182, s48                            // 000000005490: D1ED0059 00C36DB7
	v_add_f32_e32 v184, v184, v16                              // 000000005498: 037021B8
	v_add_f32_e32 v185, v185, v17                              // 00000000549C: 037223B9
	v_perm_b32 v90, v185, v184, s48                            // 0000000054A0: D1ED005A 00C371B9
	v_add_f32_e32 v186, v186, v18                              // 0000000054A8: 037425BA
	v_add_f32_e32 v187, v187, v19                              // 0000000054AC: 037627BB
	v_perm_b32 v91, v187, v186, s48                            // 0000000054B0: D1ED005B 00C375BB
	v_lshrrev_b32_e32 v4, 4, v0                                // 0000000054B8: 20080084
	v_mul_u32_u24_e32 v58, 34, v4                              // 0000000054BC: 107408A2
	v_and_b32_e32 v4, 15, v0                                   // 0000000054C0: 2608008F
	v_mul_lo_u32 v5, 2, v4                                     // 0000000054C4: D2850005 00020882
	v_add_u32_e32 v58, v5, v58                                 // 0000000054CC: 68747505
	s_mul_i32 s50, s47, 0x110                                  // 0000000054D0: 9232FF2F 00000110
	v_add_u32_e32 v58, s50, v58                                // 0000000054D8: 68747432
	v_lshlrev_b32_e32 v58, 2, v58                              // 0000000054DC: 24747482
	v_lshrrev_b32_e32 v4, 1, v0                                // 0000000054E0: 20080081
	v_mul_u32_u24_e32 v42, 34, v4                              // 0000000054E4: 105408A2
	v_and_b32_e32 v5, 1, v0                                    // 0000000054E8: 260A0081
	v_add_u32_e32 v42, v5, v42                                 // 0000000054EC: 68545505
	s_mul_i32 s50, s47, 2                                      // 0000000054F0: 9232822F
	v_add_u32_e32 v42, s50, v42                                // 0000000054F4: 68545432
	v_lshlrev_b32_e32 v42, 2, v42                              // 0000000054F8: 24545482
	s_waitcnt vmcnt(0) expcnt(0) lgkmcnt(0)                    // 0000000054FC: BF8C0000
	s_barrier                                                  // 000000005500: BF8A0000
	ds_write_b64 v58, v[60:61]                                 // 000000005504: D89A0000 00003C3A
	ds_write_b64 v58, v[62:63] offset:544                      // 00000000550C: D89A0220 00003E3A
	ds_write_b64 v58, v[64:65] offset:4352                     // 000000005514: D89A1100 0000403A
	ds_write_b64 v58, v[66:67] offset:4896                     // 00000000551C: D89A1320 0000423A
	ds_write_b64 v58, v[68:69] offset:8704                     // 000000005524: D89A2200 0000443A
	ds_write_b64 v58, v[70:71] offset:9248                     // 00000000552C: D89A2420 0000463A
	ds_write_b64 v58, v[72:73] offset:13056                    // 000000005534: D89A3300 0000483A
	ds_write_b64 v58, v[74:75] offset:13600                    // 00000000553C: D89A3520 00004A3A
	ds_write_b64 v58, v[76:77] offset:17408                    // 000000005544: D89A4400 00004C3A
	ds_write_b64 v58, v[78:79] offset:17952                    // 00000000554C: D89A4620 00004E3A
	ds_write_b64 v58, v[80:81] offset:21760                    // 000000005554: D89A5500 0000503A
	ds_write_b64 v58, v[82:83] offset:22304                    // 00000000555C: D89A5720 0000523A
	ds_write_b64 v58, v[84:85] offset:26112                    // 000000005564: D89A6600 0000543A
	ds_write_b64 v58, v[86:87] offset:26656                    // 00000000556C: D89A6820 0000563A
	ds_write_b64 v58, v[88:89] offset:30464                    // 000000005574: D89A7700 0000583A
	ds_write_b64 v58, v[90:91] offset:31008                    // 00000000557C: D89A7920 00005A3A
	s_waitcnt lgkmcnt(0)                                       // 000000005584: BF8CC07F
	s_barrier                                                  // 000000005588: BF8A0000
	ds_read_b32 v60, v42                                       // 00000000558C: D86C0000 3C00002A
	ds_read_b32 v61, v42 offset:32                             // 000000005594: D86C0020 3D00002A
	ds_read_b32 v62, v42 offset:64                             // 00000000559C: D86C0040 3E00002A
	ds_read_b32 v63, v42 offset:96                             // 0000000055A4: D86C0060 3F00002A
	ds_read_b32 v64, v42 offset:4352                           // 0000000055AC: D86C1100 4000002A
	ds_read_b32 v65, v42 offset:4384                           // 0000000055B4: D86C1120 4100002A
	ds_read_b32 v66, v42 offset:4416                           // 0000000055BC: D86C1140 4200002A
	ds_read_b32 v67, v42 offset:4448                           // 0000000055C4: D86C1160 4300002A
	ds_read_b32 v68, v42 offset:8704                           // 0000000055CC: D86C2200 4400002A
	ds_read_b32 v69, v42 offset:8736                           // 0000000055D4: D86C2220 4500002A
	ds_read_b32 v70, v42 offset:8768                           // 0000000055DC: D86C2240 4600002A
	ds_read_b32 v71, v42 offset:8800                           // 0000000055E4: D86C2260 4700002A
	ds_read_b32 v72, v42 offset:13056                          // 0000000055EC: D86C3300 4800002A
	ds_read_b32 v73, v42 offset:13088                          // 0000000055F4: D86C3320 4900002A
	ds_read_b32 v74, v42 offset:13120                          // 0000000055FC: D86C3340 4A00002A
	ds_read_b32 v75, v42 offset:13152                          // 000000005604: D86C3360 4B00002A
	ds_read_b32 v76, v42 offset:17408                          // 00000000560C: D86C4400 4C00002A
	ds_read_b32 v77, v42 offset:17440                          // 000000005614: D86C4420 4D00002A
	ds_read_b32 v78, v42 offset:17472                          // 00000000561C: D86C4440 4E00002A
	ds_read_b32 v79, v42 offset:17504                          // 000000005624: D86C4460 4F00002A
	ds_read_b32 v80, v42 offset:21760                          // 00000000562C: D86C5500 5000002A
	ds_read_b32 v81, v42 offset:21792                          // 000000005634: D86C5520 5100002A
	ds_read_b32 v82, v42 offset:21824                          // 00000000563C: D86C5540 5200002A
	ds_read_b32 v83, v42 offset:21856                          // 000000005644: D86C5560 5300002A
	ds_read_b32 v84, v42 offset:26112                          // 00000000564C: D86C6600 5400002A
	ds_read_b32 v85, v42 offset:26144                          // 000000005654: D86C6620 5500002A
	ds_read_b32 v86, v42 offset:26176                          // 00000000565C: D86C6640 5600002A
	ds_read_b32 v87, v42 offset:26208                          // 000000005664: D86C6660 5700002A
	ds_read_b32 v88, v42 offset:30464                          // 00000000566C: D86C7700 5800002A
	ds_read_b32 v89, v42 offset:30496                          // 000000005674: D86C7720 5900002A
	ds_read_b32 v90, v42 offset:30528                          // 00000000567C: D86C7740 5A00002A
	ds_read_b32 v91, v42 offset:30560                          // 000000005684: D86C7760 5B00002A
	s_waitcnt lgkmcnt(0)                                       // 00000000568C: BF8CC07F
	s_barrier                                                  // 000000005690: BF8A0000
	s_mul_i32 s50, s37, 4                                      // 000000005694: 92328425
	s_mul_i32 s51, s37, 8                                      // 000000005698: 92338825
	s_mul_i32 s52, s37, 16                                     // 00000000569C: 92349025
	v_mov_b32_e32 v4, v28                                      // 0000000056A0: 7E08031C
	v_mov_b32_e32 v5, 0                                        // 0000000056A4: 7E0A0280
	v_mov_b32_e32 v7, 0                                        // 0000000056A8: 7E0E0280
	v_mov_b32_e32 v9, 0                                        // 0000000056AC: 7E120280
	v_mov_b32_e32 v11, 0                                       // 0000000056B0: 7E160280
	v_mov_b32_e32 v6, v4                                       // 0000000056B4: 7E0C0304
	v_add_u32_e64 v10, v4, s51                                 // 0000000056B8: D134000A 00006704
	s_cmp_ge_u32 s77, s32                                      // 0000000056C0: BF09204D
	s_cbranch_scc1 label_0E76                                  // 0000000056C4: BF850184
	global_atomic_pk_add_bf16 v6, v60, s[80:81]                // 0000000056C8: DD488000 00503C06
	v_add_u32_e64 v8, v6, s50                                  // 0000000056D0: D1340008 00006506
	s_add_i32 s77, s77, 4                                      // 0000000056D8: 814D844D
	s_cmp_ge_u32 s77, s32                                      // 0000000056DC: BF09204D
	s_cbranch_scc1 label_0E76                                  // 0000000056E0: BF85017D
	global_atomic_pk_add_bf16 v8, v61, s[80:81]                // 0000000056E4: DD488000 00503D08
	s_add_i32 s77, s77, 4                                      // 0000000056EC: 814D844D
	s_cmp_ge_u32 s77, s32                                      // 0000000056F0: BF09204D
	s_cbranch_scc1 label_0E76                                  // 0000000056F4: BF850178
	global_atomic_pk_add_bf16 v10, v62, s[80:81]               // 0000000056F8: DD488000 00503E0A
	v_add_u32_e64 v12, v10, s50                                // 000000005700: D134000C 0000650A
	s_add_i32 s77, s77, 4                                      // 000000005708: 814D844D
	s_cmp_ge_u32 s77, s32                                      // 00000000570C: BF09204D
	s_cbranch_scc1 label_0E76                                  // 000000005710: BF850171
	global_atomic_pk_add_bf16 v12, v63, s[80:81]               // 000000005714: DD488000 00503F0C
	s_add_i32 s77, s77, 4                                      // 00000000571C: 814D844D
	v_add_u32_e64 v4, v4, s52                                  // 000000005720: D1340004 00006904
	v_mov_b32_e32 v6, v4                                       // 000000005728: 7E0C0304
	v_add_u32_e64 v10, v4, s51                                 // 00000000572C: D134000A 00006704
	s_cmp_ge_u32 s77, s32                                      // 000000005734: BF09204D
	s_cbranch_scc1 label_0E76                                  // 000000005738: BF850167
	global_atomic_pk_add_bf16 v6, v64, s[80:81]                // 00000000573C: DD488000 00504006
	v_add_u32_e64 v8, v6, s50                                  // 000000005744: D1340008 00006506
	s_add_i32 s77, s77, 4                                      // 00000000574C: 814D844D
	s_cmp_ge_u32 s77, s32                                      // 000000005750: BF09204D
	s_cbranch_scc1 label_0E76                                  // 000000005754: BF850160
	global_atomic_pk_add_bf16 v8, v65, s[80:81]                // 000000005758: DD488000 00504108
	s_add_i32 s77, s77, 4                                      // 000000005760: 814D844D
	s_cmp_ge_u32 s77, s32                                      // 000000005764: BF09204D
	s_cbranch_scc1 label_0E76                                  // 000000005768: BF85015B
	global_atomic_pk_add_bf16 v10, v66, s[80:81]               // 00000000576C: DD488000 0050420A
	v_add_u32_e64 v12, v10, s50                                // 000000005774: D134000C 0000650A
	s_add_i32 s77, s77, 4                                      // 00000000577C: 814D844D
	s_cmp_ge_u32 s77, s32                                      // 000000005780: BF09204D
	s_cbranch_scc1 label_0E76                                  // 000000005784: BF850154
	global_atomic_pk_add_bf16 v12, v67, s[80:81]               // 000000005788: DD488000 0050430C
	s_add_i32 s77, s77, 4                                      // 000000005790: 814D844D
	v_add_u32_e64 v4, v4, s52                                  // 000000005794: D1340004 00006904
	v_mov_b32_e32 v6, v4                                       // 00000000579C: 7E0C0304
	v_add_u32_e64 v10, v4, s51                                 // 0000000057A0: D134000A 00006704
	s_cmp_ge_u32 s77, s32                                      // 0000000057A8: BF09204D
	s_cbranch_scc1 label_0E76                                  // 0000000057AC: BF85014A
	global_atomic_pk_add_bf16 v6, v68, s[80:81]                // 0000000057B0: DD488000 00504406
	v_add_u32_e64 v8, v6, s50                                  // 0000000057B8: D1340008 00006506
	s_add_i32 s77, s77, 4                                      // 0000000057C0: 814D844D
	s_cmp_ge_u32 s77, s32                                      // 0000000057C4: BF09204D
	s_cbranch_scc1 label_0E76                                  // 0000000057C8: BF850143
	global_atomic_pk_add_bf16 v8, v69, s[80:81]                // 0000000057CC: DD488000 00504508
	s_add_i32 s77, s77, 4                                      // 0000000057D4: 814D844D
	s_cmp_ge_u32 s77, s32                                      // 0000000057D8: BF09204D
	s_cbranch_scc1 label_0E76                                  // 0000000057DC: BF85013E
	global_atomic_pk_add_bf16 v10, v70, s[80:81]               // 0000000057E0: DD488000 0050460A
	v_add_u32_e64 v12, v10, s50                                // 0000000057E8: D134000C 0000650A
	s_add_i32 s77, s77, 4                                      // 0000000057F0: 814D844D
	s_cmp_ge_u32 s77, s32                                      // 0000000057F4: BF09204D
	s_cbranch_scc1 label_0E76                                  // 0000000057F8: BF850137
	global_atomic_pk_add_bf16 v12, v71, s[80:81]               // 0000000057FC: DD488000 0050470C
	s_add_i32 s77, s77, 4                                      // 000000005804: 814D844D
	v_add_u32_e64 v4, v4, s52                                  // 000000005808: D1340004 00006904
	v_mov_b32_e32 v6, v4                                       // 000000005810: 7E0C0304
	v_add_u32_e64 v10, v4, s51                                 // 000000005814: D134000A 00006704
	s_cmp_ge_u32 s77, s32                                      // 00000000581C: BF09204D
	s_cbranch_scc1 label_0E76                                  // 000000005820: BF85012D
	global_atomic_pk_add_bf16 v6, v72, s[80:81]                // 000000005824: DD488000 00504806
	v_add_u32_e64 v8, v6, s50                                  // 00000000582C: D1340008 00006506
	s_add_i32 s77, s77, 4                                      // 000000005834: 814D844D
	s_cmp_ge_u32 s77, s32                                      // 000000005838: BF09204D
	s_cbranch_scc1 label_0E76                                  // 00000000583C: BF850126
	global_atomic_pk_add_bf16 v8, v73, s[80:81]                // 000000005840: DD488000 00504908
	s_add_i32 s77, s77, 4                                      // 000000005848: 814D844D
	s_cmp_ge_u32 s77, s32                                      // 00000000584C: BF09204D
	s_cbranch_scc1 label_0E76                                  // 000000005850: BF850121
	global_atomic_pk_add_bf16 v10, v74, s[80:81]               // 000000005854: DD488000 00504A0A
	v_add_u32_e64 v12, v10, s50                                // 00000000585C: D134000C 0000650A
	s_add_i32 s77, s77, 4                                      // 000000005864: 814D844D
	s_cmp_ge_u32 s77, s32                                      // 000000005868: BF09204D
	s_cbranch_scc1 label_0E76                                  // 00000000586C: BF85011A
	global_atomic_pk_add_bf16 v12, v75, s[80:81]               // 000000005870: DD488000 00504B0C
	s_add_i32 s77, s77, 4                                      // 000000005878: 814D844D
	v_add_u32_e64 v4, v4, s52                                  // 00000000587C: D1340004 00006904
	v_mov_b32_e32 v6, v4                                       // 000000005884: 7E0C0304
	v_add_u32_e64 v10, v4, s51                                 // 000000005888: D134000A 00006704
	s_cmp_ge_u32 s77, s32                                      // 000000005890: BF09204D
	s_cbranch_scc1 label_0E76                                  // 000000005894: BF850110
	global_atomic_pk_add_bf16 v6, v76, s[80:81]                // 000000005898: DD488000 00504C06
	v_add_u32_e64 v8, v6, s50                                  // 0000000058A0: D1340008 00006506
	s_add_i32 s77, s77, 4                                      // 0000000058A8: 814D844D
	s_cmp_ge_u32 s77, s32                                      // 0000000058AC: BF09204D
	s_cbranch_scc1 label_0E76                                  // 0000000058B0: BF850109
	global_atomic_pk_add_bf16 v8, v77, s[80:81]                // 0000000058B4: DD488000 00504D08
	s_add_i32 s77, s77, 4                                      // 0000000058BC: 814D844D
	s_cmp_ge_u32 s77, s32                                      // 0000000058C0: BF09204D
	s_cbranch_scc1 label_0E76                                  // 0000000058C4: BF850104
	global_atomic_pk_add_bf16 v10, v78, s[80:81]               // 0000000058C8: DD488000 00504E0A
	v_add_u32_e64 v12, v10, s50                                // 0000000058D0: D134000C 0000650A
	s_add_i32 s77, s77, 4                                      // 0000000058D8: 814D844D
	s_cmp_ge_u32 s77, s32                                      // 0000000058DC: BF09204D
	s_cbranch_scc1 label_0E76                                  // 0000000058E0: BF8500FD
	global_atomic_pk_add_bf16 v12, v79, s[80:81]               // 0000000058E4: DD488000 00504F0C
	s_add_i32 s77, s77, 4                                      // 0000000058EC: 814D844D
	v_add_u32_e64 v4, v4, s52                                  // 0000000058F0: D1340004 00006904
	v_mov_b32_e32 v6, v4                                       // 0000000058F8: 7E0C0304
	v_add_u32_e64 v10, v4, s51                                 // 0000000058FC: D134000A 00006704
	s_cmp_ge_u32 s77, s32                                      // 000000005904: BF09204D
	s_cbranch_scc1 label_0E76                                  // 000000005908: BF8500F3
	global_atomic_pk_add_bf16 v6, v80, s[80:81]                // 00000000590C: DD488000 00505006
	v_add_u32_e64 v8, v6, s50                                  // 000000005914: D1340008 00006506
	s_add_i32 s77, s77, 4                                      // 00000000591C: 814D844D
	s_cmp_ge_u32 s77, s32                                      // 000000005920: BF09204D
	s_cbranch_scc1 label_0E76                                  // 000000005924: BF8500EC
	global_atomic_pk_add_bf16 v8, v81, s[80:81]                // 000000005928: DD488000 00505108
	s_add_i32 s77, s77, 4                                      // 000000005930: 814D844D
	s_cmp_ge_u32 s77, s32                                      // 000000005934: BF09204D
	s_cbranch_scc1 label_0E76                                  // 000000005938: BF8500E7
	global_atomic_pk_add_bf16 v10, v82, s[80:81]               // 00000000593C: DD488000 0050520A
	v_add_u32_e64 v12, v10, s50                                // 000000005944: D134000C 0000650A
	s_add_i32 s77, s77, 4                                      // 00000000594C: 814D844D
	s_cmp_ge_u32 s77, s32                                      // 000000005950: BF09204D
	s_cbranch_scc1 label_0E76                                  // 000000005954: BF8500E0
	global_atomic_pk_add_bf16 v12, v83, s[80:81]               // 000000005958: DD488000 0050530C
	s_add_i32 s77, s77, 4                                      // 000000005960: 814D844D
	v_add_u32_e64 v4, v4, s52                                  // 000000005964: D1340004 00006904
	v_mov_b32_e32 v6, v4                                       // 00000000596C: 7E0C0304
	v_add_u32_e64 v10, v4, s51                                 // 000000005970: D134000A 00006704
	s_cmp_ge_u32 s77, s32                                      // 000000005978: BF09204D
	s_cbranch_scc1 label_0E76                                  // 00000000597C: BF8500D6
	global_atomic_pk_add_bf16 v6, v84, s[80:81]                // 000000005980: DD488000 00505406
	v_add_u32_e64 v8, v6, s50                                  // 000000005988: D1340008 00006506
	s_add_i32 s77, s77, 4                                      // 000000005990: 814D844D
	s_cmp_ge_u32 s77, s32                                      // 000000005994: BF09204D
	s_cbranch_scc1 label_0E76                                  // 000000005998: BF8500CF
	global_atomic_pk_add_bf16 v8, v85, s[80:81]                // 00000000599C: DD488000 00505508
	s_add_i32 s77, s77, 4                                      // 0000000059A4: 814D844D
	s_cmp_ge_u32 s77, s32                                      // 0000000059A8: BF09204D
	s_cbranch_scc1 label_0E76                                  // 0000000059AC: BF8500CA
	global_atomic_pk_add_bf16 v10, v86, s[80:81]               // 0000000059B0: DD488000 0050560A
	v_add_u32_e64 v12, v10, s50                                // 0000000059B8: D134000C 0000650A
	s_add_i32 s77, s77, 4                                      // 0000000059C0: 814D844D
	s_cmp_ge_u32 s77, s32                                      // 0000000059C4: BF09204D
	s_cbranch_scc1 label_0E76                                  // 0000000059C8: BF8500C3
	global_atomic_pk_add_bf16 v12, v87, s[80:81]               // 0000000059CC: DD488000 0050570C
	s_add_i32 s77, s77, 4                                      // 0000000059D4: 814D844D
	v_add_u32_e64 v4, v4, s52                                  // 0000000059D8: D1340004 00006904
	v_mov_b32_e32 v6, v4                                       // 0000000059E0: 7E0C0304
	v_add_u32_e64 v10, v4, s51                                 // 0000000059E4: D134000A 00006704
	s_cmp_ge_u32 s77, s32                                      // 0000000059EC: BF09204D
	s_cbranch_scc1 label_0E76                                  // 0000000059F0: BF8500B9
	global_atomic_pk_add_bf16 v6, v88, s[80:81]                // 0000000059F4: DD488000 00505806
	v_add_u32_e64 v8, v6, s50                                  // 0000000059FC: D1340008 00006506
	s_add_i32 s77, s77, 4                                      // 000000005A04: 814D844D
	s_cmp_ge_u32 s77, s32                                      // 000000005A08: BF09204D
	s_cbranch_scc1 label_0E76                                  // 000000005A0C: BF8500B2
	global_atomic_pk_add_bf16 v8, v89, s[80:81]                // 000000005A10: DD488000 00505908
	s_add_i32 s77, s77, 4                                      // 000000005A18: 814D844D
	s_cmp_ge_u32 s77, s32                                      // 000000005A1C: BF09204D
	s_cbranch_scc1 label_0E76                                  // 000000005A20: BF8500AD
	global_atomic_pk_add_bf16 v10, v90, s[80:81]               // 000000005A24: DD488000 00505A0A
	v_add_u32_e64 v12, v10, s50                                // 000000005A2C: D134000C 0000650A
	s_add_i32 s77, s77, 4                                      // 000000005A34: 814D844D
	s_cmp_ge_u32 s77, s32                                      // 000000005A38: BF09204D
	s_cbranch_scc1 label_0E76                                  // 000000005A3C: BF8500A6
	global_atomic_pk_add_bf16 v12, v91, s[80:81]               // 000000005A40: DD488000 00505B0C
	s_add_i32 s77, s77, 4                                      // 000000005A48: 814D844D
	v_add_u32_e64 v4, v4, s52                                  // 000000005A4C: D1340004 00006904
	s_branch label_0E76                                        // 000000005A54: BF8200A0

0000000000005a58 <label_0DD6>:
	v_add_f32_e32 v124, v124, v12                              // 000000005A58: 02F8197C
	v_add_f32_e32 v125, v125, v13                              // 000000005A5C: 02FA1B7D
	v_perm_b32 v60, v125, v124, s48                            // 000000005A60: D1ED003C 00C2F97D
	v_add_f32_e32 v126, v126, v14                              // 000000005A68: 02FC1D7E
	v_add_f32_e32 v127, v127, v15                              // 000000005A6C: 02FE1F7F
	v_perm_b32 v61, v127, v126, s48                            // 000000005A70: D1ED003D 00C2FD7F
	buffer_store_dwordx2 v[60:61], v20, s[16:19], 0 offen      // 000000005A78: E0741000 80043C14
	v_add_f32_e32 v128, v128, v16                              // 000000005A80: 03002180
	v_add_f32_e32 v129, v129, v17                              // 000000005A84: 03022381
	v_perm_b32 v62, v129, v128, s48                            // 000000005A88: D1ED003E 00C30181
	v_add_f32_e32 v130, v130, v18                              // 000000005A90: 03042582
	v_add_f32_e32 v131, v131, v19                              // 000000005A94: 03062783
	v_perm_b32 v63, v131, v130, s48                            // 000000005A98: D1ED003F 00C30583
	buffer_store_dwordx2 v[62:63], v20, s[16:19], 0 offen offset:32// 000000005AA0: E0741020 80043E14
	v_add_f32_e32 v132, v132, v12                              // 000000005AA8: 03081984
	v_add_f32_e32 v133, v133, v13                              // 000000005AAC: 030A1B85
	v_perm_b32 v64, v133, v132, s48                            // 000000005AB0: D1ED0040 00C30985
	v_add_f32_e32 v134, v134, v14                              // 000000005AB8: 030C1D86
	v_add_f32_e32 v135, v135, v15                              // 000000005ABC: 030E1F87
	v_perm_b32 v65, v135, v134, s48                            // 000000005AC0: D1ED0041 00C30D87
	buffer_store_dwordx2 v[64:65], v21, s[16:19], 0 offen      // 000000005AC8: E0741000 80044015
	v_add_f32_e32 v136, v136, v16                              // 000000005AD0: 03102188
	v_add_f32_e32 v137, v137, v17                              // 000000005AD4: 03122389
	v_perm_b32 v66, v137, v136, s48                            // 000000005AD8: D1ED0042 00C31189
	v_add_f32_e32 v138, v138, v18                              // 000000005AE0: 0314258A
	v_add_f32_e32 v139, v139, v19                              // 000000005AE4: 0316278B
	v_perm_b32 v67, v139, v138, s48                            // 000000005AE8: D1ED0043 00C3158B
	buffer_store_dwordx2 v[66:67], v21, s[16:19], 0 offen offset:32// 000000005AF0: E0741020 80044215
	v_add_f32_e32 v140, v140, v12                              // 000000005AF8: 0318198C
	v_add_f32_e32 v141, v141, v13                              // 000000005AFC: 031A1B8D
	v_perm_b32 v68, v141, v140, s48                            // 000000005B00: D1ED0044 00C3198D
	v_add_f32_e32 v142, v142, v14                              // 000000005B08: 031C1D8E
	v_add_f32_e32 v143, v143, v15                              // 000000005B0C: 031E1F8F
	v_perm_b32 v69, v143, v142, s48                            // 000000005B10: D1ED0045 00C31D8F
	buffer_store_dwordx2 v[68:69], v22, s[16:19], 0 offen      // 000000005B18: E0741000 80044416
	v_add_f32_e32 v144, v144, v16                              // 000000005B20: 03202190
	v_add_f32_e32 v145, v145, v17                              // 000000005B24: 03222391
	v_perm_b32 v70, v145, v144, s48                            // 000000005B28: D1ED0046 00C32191
	v_add_f32_e32 v146, v146, v18                              // 000000005B30: 03242592
	v_add_f32_e32 v147, v147, v19                              // 000000005B34: 03262793
	v_perm_b32 v71, v147, v146, s48                            // 000000005B38: D1ED0047 00C32593
	buffer_store_dwordx2 v[70:71], v22, s[16:19], 0 offen offset:32// 000000005B40: E0741020 80044616
	v_add_f32_e32 v148, v148, v12                              // 000000005B48: 03281994
	v_add_f32_e32 v149, v149, v13                              // 000000005B4C: 032A1B95
	v_perm_b32 v72, v149, v148, s48                            // 000000005B50: D1ED0048 00C32995
	v_add_f32_e32 v150, v150, v14                              // 000000005B58: 032C1D96
	v_add_f32_e32 v151, v151, v15                              // 000000005B5C: 032E1F97
	v_perm_b32 v73, v151, v150, s48                            // 000000005B60: D1ED0049 00C32D97
	buffer_store_dwordx2 v[72:73], v23, s[16:19], 0 offen      // 000000005B68: E0741000 80044817
	v_add_f32_e32 v152, v152, v16                              // 000000005B70: 03302198
	v_add_f32_e32 v153, v153, v17                              // 000000005B74: 03322399
	v_perm_b32 v74, v153, v152, s48                            // 000000005B78: D1ED004A 00C33199
	v_add_f32_e32 v154, v154, v18                              // 000000005B80: 0334259A
	v_add_f32_e32 v155, v155, v19                              // 000000005B84: 0336279B
	v_perm_b32 v75, v155, v154, s48                            // 000000005B88: D1ED004B 00C3359B
	buffer_store_dwordx2 v[74:75], v23, s[16:19], 0 offen offset:32// 000000005B90: E0741020 80044A17
	v_add_f32_e32 v156, v156, v12                              // 000000005B98: 0338199C
	v_add_f32_e32 v157, v157, v13                              // 000000005B9C: 033A1B9D
	v_perm_b32 v76, v157, v156, s48                            // 000000005BA0: D1ED004C 00C3399D
	v_add_f32_e32 v158, v158, v14                              // 000000005BA8: 033C1D9E
	v_add_f32_e32 v159, v159, v15                              // 000000005BAC: 033E1F9F
	v_perm_b32 v77, v159, v158, s48                            // 000000005BB0: D1ED004D 00C33D9F
	buffer_store_dwordx2 v[76:77], v24, s[16:19], 0 offen      // 000000005BB8: E0741000 80044C18
	v_add_f32_e32 v160, v160, v16                              // 000000005BC0: 034021A0
	v_add_f32_e32 v161, v161, v17                              // 000000005BC4: 034223A1
	v_perm_b32 v78, v161, v160, s48                            // 000000005BC8: D1ED004E 00C341A1
	v_add_f32_e32 v162, v162, v18                              // 000000005BD0: 034425A2
	v_add_f32_e32 v163, v163, v19                              // 000000005BD4: 034627A3
	v_perm_b32 v79, v163, v162, s48                            // 000000005BD8: D1ED004F 00C345A3
	buffer_store_dwordx2 v[78:79], v24, s[16:19], 0 offen offset:32// 000000005BE0: E0741020 80044E18
	v_add_f32_e32 v164, v164, v12                              // 000000005BE8: 034819A4
	v_add_f32_e32 v165, v165, v13                              // 000000005BEC: 034A1BA5
	v_perm_b32 v80, v165, v164, s48                            // 000000005BF0: D1ED0050 00C349A5
	v_add_f32_e32 v166, v166, v14                              // 000000005BF8: 034C1DA6
	v_add_f32_e32 v167, v167, v15                              // 000000005BFC: 034E1FA7
	v_perm_b32 v81, v167, v166, s48                            // 000000005C00: D1ED0051 00C34DA7
	buffer_store_dwordx2 v[80:81], v25, s[16:19], 0 offen      // 000000005C08: E0741000 80045019
	v_add_f32_e32 v168, v168, v16                              // 000000005C10: 035021A8
	v_add_f32_e32 v169, v169, v17                              // 000000005C14: 035223A9
	v_perm_b32 v82, v169, v168, s48                            // 000000005C18: D1ED0052 00C351A9
	v_add_f32_e32 v170, v170, v18                              // 000000005C20: 035425AA
	v_add_f32_e32 v171, v171, v19                              // 000000005C24: 035627AB
	v_perm_b32 v83, v171, v170, s48                            // 000000005C28: D1ED0053 00C355AB
	buffer_store_dwordx2 v[82:83], v25, s[16:19], 0 offen offset:32// 000000005C30: E0741020 80045219
	v_add_f32_e32 v172, v172, v12                              // 000000005C38: 035819AC
	v_add_f32_e32 v173, v173, v13                              // 000000005C3C: 035A1BAD
	v_perm_b32 v84, v173, v172, s48                            // 000000005C40: D1ED0054 00C359AD
	v_add_f32_e32 v174, v174, v14                              // 000000005C48: 035C1DAE
	v_add_f32_e32 v175, v175, v15                              // 000000005C4C: 035E1FAF
	v_perm_b32 v85, v175, v174, s48                            // 000000005C50: D1ED0055 00C35DAF
	buffer_store_dwordx2 v[84:85], v26, s[16:19], 0 offen      // 000000005C58: E0741000 8004541A
	v_add_f32_e32 v176, v176, v16                              // 000000005C60: 036021B0
	v_add_f32_e32 v177, v177, v17                              // 000000005C64: 036223B1
	v_perm_b32 v86, v177, v176, s48                            // 000000005C68: D1ED0056 00C361B1
	v_add_f32_e32 v178, v178, v18                              // 000000005C70: 036425B2
	v_add_f32_e32 v179, v179, v19                              // 000000005C74: 036627B3
	v_perm_b32 v87, v179, v178, s48                            // 000000005C78: D1ED0057 00C365B3
	buffer_store_dwordx2 v[86:87], v26, s[16:19], 0 offen offset:32// 000000005C80: E0741020 8004561A
	v_add_f32_e32 v180, v180, v12                              // 000000005C88: 036819B4
	v_add_f32_e32 v181, v181, v13                              // 000000005C8C: 036A1BB5
	v_perm_b32 v88, v181, v180, s48                            // 000000005C90: D1ED0058 00C369B5
	v_add_f32_e32 v182, v182, v14                              // 000000005C98: 036C1DB6
	v_add_f32_e32 v183, v183, v15                              // 000000005C9C: 036E1FB7
	v_perm_b32 v89, v183, v182, s48                            // 000000005CA0: D1ED0059 00C36DB7
	buffer_store_dwordx2 v[88:89], v27, s[16:19], 0 offen      // 000000005CA8: E0741000 8004581B
	v_add_f32_e32 v184, v184, v16                              // 000000005CB0: 037021B8
	v_add_f32_e32 v185, v185, v17                              // 000000005CB4: 037223B9
	v_perm_b32 v90, v185, v184, s48                            // 000000005CB8: D1ED005A 00C371B9
	v_add_f32_e32 v186, v186, v18                              // 000000005CC0: 037425BA
	v_add_f32_e32 v187, v187, v19                              // 000000005CC4: 037627BB
	v_perm_b32 v91, v187, v186, s48                            // 000000005CC8: D1ED005B 00C375BB
	buffer_store_dwordx2 v[90:91], v27, s[16:19], 0 offen offset:32// 000000005CD0: E0741020 80045A1B

0000000000005cd8 <label_0E76>:
	s_waitcnt vmcnt(0) expcnt(0) lgkmcnt(0)                    // 000000005CD8: BF8C0000
	s_endpgm                                                   // 000000005CDC: BF810000
